;; amdgpu-corpus repo=ROCm/rocFFT kind=compiled arch=gfx1201 opt=O3
	.text
	.amdgcn_target "amdgcn-amd-amdhsa--gfx1201"
	.amdhsa_code_object_version 6
	.protected	fft_rtc_fwd_len1156_factors_17_2_17_2_wgs_204_tpt_68_halfLds_dp_ip_CI_unitstride_sbrr_C2R_dirReg ; -- Begin function fft_rtc_fwd_len1156_factors_17_2_17_2_wgs_204_tpt_68_halfLds_dp_ip_CI_unitstride_sbrr_C2R_dirReg
	.globl	fft_rtc_fwd_len1156_factors_17_2_17_2_wgs_204_tpt_68_halfLds_dp_ip_CI_unitstride_sbrr_C2R_dirReg
	.p2align	8
	.type	fft_rtc_fwd_len1156_factors_17_2_17_2_wgs_204_tpt_68_halfLds_dp_ip_CI_unitstride_sbrr_C2R_dirReg,@function
fft_rtc_fwd_len1156_factors_17_2_17_2_wgs_204_tpt_68_halfLds_dp_ip_CI_unitstride_sbrr_C2R_dirReg: ; @fft_rtc_fwd_len1156_factors_17_2_17_2_wgs_204_tpt_68_halfLds_dp_ip_CI_unitstride_sbrr_C2R_dirReg
; %bb.0:
	s_load_b128 s[4:7], s[0:1], 0x0
	v_mul_u32_u24_e32 v1, 0x3c4, v0
	s_clause 0x1
	s_load_b64 s[8:9], s[0:1], 0x50
	s_load_b64 s[10:11], s[0:1], 0x18
	v_mov_b32_e32 v5, 0
	v_lshrrev_b32_e32 v1, 16, v1
	s_delay_alu instid0(VALU_DEP_1) | instskip(SKIP_3) | instid1(VALU_DEP_1)
	v_mad_co_u64_u32 v[1:2], null, ttmp9, 3, v[1:2]
	v_mov_b32_e32 v3, 0
	v_mov_b32_e32 v4, 0
	;; [unrolled: 1-line block ×4, first 2 shown]
	s_wait_kmcnt 0x0
	v_cmp_lt_u64_e64 s2, s[6:7], 2
	v_mov_b32_e32 v9, v1
	s_delay_alu instid0(VALU_DEP_2)
	s_and_b32 vcc_lo, exec_lo, s2
	s_cbranch_vccnz .LBB0_8
; %bb.1:
	s_load_b64 s[2:3], s[0:1], 0x10
	v_dual_mov_b32 v3, 0 :: v_dual_mov_b32 v8, v2
	v_dual_mov_b32 v4, 0 :: v_dual_mov_b32 v7, v1
	s_add_nc_u64 s[12:13], s[10:11], 8
	s_mov_b64 s[14:15], 1
	s_wait_kmcnt 0x0
	s_add_nc_u64 s[16:17], s[2:3], 8
	s_mov_b32 s3, 0
.LBB0_2:                                ; =>This Inner Loop Header: Depth=1
	s_load_b64 s[18:19], s[16:17], 0x0
                                        ; implicit-def: $vgpr9_vgpr10
	s_mov_b32 s2, exec_lo
	s_wait_kmcnt 0x0
	v_or_b32_e32 v6, s19, v8
	s_delay_alu instid0(VALU_DEP_1)
	v_cmpx_ne_u64_e32 0, v[5:6]
	s_wait_alu 0xfffe
	s_xor_b32 s20, exec_lo, s2
	s_cbranch_execz .LBB0_4
; %bb.3:                                ;   in Loop: Header=BB0_2 Depth=1
	s_cvt_f32_u32 s2, s18
	s_cvt_f32_u32 s21, s19
	s_sub_nc_u64 s[24:25], 0, s[18:19]
	s_wait_alu 0xfffe
	s_delay_alu instid0(SALU_CYCLE_1) | instskip(SKIP_1) | instid1(SALU_CYCLE_2)
	s_fmamk_f32 s2, s21, 0x4f800000, s2
	s_wait_alu 0xfffe
	v_s_rcp_f32 s2, s2
	s_delay_alu instid0(TRANS32_DEP_1) | instskip(SKIP_1) | instid1(SALU_CYCLE_2)
	s_mul_f32 s2, s2, 0x5f7ffffc
	s_wait_alu 0xfffe
	s_mul_f32 s21, s2, 0x2f800000
	s_wait_alu 0xfffe
	s_delay_alu instid0(SALU_CYCLE_2) | instskip(SKIP_1) | instid1(SALU_CYCLE_2)
	s_trunc_f32 s21, s21
	s_wait_alu 0xfffe
	s_fmamk_f32 s2, s21, 0xcf800000, s2
	s_cvt_u32_f32 s23, s21
	s_wait_alu 0xfffe
	s_delay_alu instid0(SALU_CYCLE_1) | instskip(SKIP_1) | instid1(SALU_CYCLE_2)
	s_cvt_u32_f32 s22, s2
	s_wait_alu 0xfffe
	s_mul_u64 s[26:27], s[24:25], s[22:23]
	s_wait_alu 0xfffe
	s_mul_hi_u32 s29, s22, s27
	s_mul_i32 s28, s22, s27
	s_mul_hi_u32 s2, s22, s26
	s_mul_i32 s30, s23, s26
	s_wait_alu 0xfffe
	s_add_nc_u64 s[28:29], s[2:3], s[28:29]
	s_mul_hi_u32 s21, s23, s26
	s_mul_hi_u32 s31, s23, s27
	s_add_co_u32 s2, s28, s30
	s_wait_alu 0xfffe
	s_add_co_ci_u32 s2, s29, s21
	s_mul_i32 s26, s23, s27
	s_add_co_ci_u32 s27, s31, 0
	s_wait_alu 0xfffe
	s_add_nc_u64 s[26:27], s[2:3], s[26:27]
	s_wait_alu 0xfffe
	v_add_co_u32 v2, s2, s22, s26
	s_delay_alu instid0(VALU_DEP_1) | instskip(SKIP_1) | instid1(VALU_DEP_1)
	s_cmp_lg_u32 s2, 0
	s_add_co_ci_u32 s23, s23, s27
	v_readfirstlane_b32 s22, v2
	s_wait_alu 0xfffe
	s_delay_alu instid0(VALU_DEP_1)
	s_mul_u64 s[24:25], s[24:25], s[22:23]
	s_wait_alu 0xfffe
	s_mul_hi_u32 s27, s22, s25
	s_mul_i32 s26, s22, s25
	s_mul_hi_u32 s2, s22, s24
	s_mul_i32 s28, s23, s24
	s_wait_alu 0xfffe
	s_add_nc_u64 s[26:27], s[2:3], s[26:27]
	s_mul_hi_u32 s21, s23, s24
	s_mul_hi_u32 s22, s23, s25
	s_wait_alu 0xfffe
	s_add_co_u32 s2, s26, s28
	s_add_co_ci_u32 s2, s27, s21
	s_mul_i32 s24, s23, s25
	s_add_co_ci_u32 s25, s22, 0
	s_wait_alu 0xfffe
	s_add_nc_u64 s[24:25], s[2:3], s[24:25]
	s_wait_alu 0xfffe
	v_add_co_u32 v2, s2, v2, s24
	s_delay_alu instid0(VALU_DEP_1) | instskip(SKIP_1) | instid1(VALU_DEP_1)
	s_cmp_lg_u32 s2, 0
	s_add_co_ci_u32 s2, s23, s25
	v_mul_hi_u32 v6, v7, v2
	s_wait_alu 0xfffe
	v_mad_co_u64_u32 v[9:10], null, v7, s2, 0
	v_mad_co_u64_u32 v[11:12], null, v8, v2, 0
	;; [unrolled: 1-line block ×3, first 2 shown]
	s_delay_alu instid0(VALU_DEP_3) | instskip(SKIP_1) | instid1(VALU_DEP_4)
	v_add_co_u32 v2, vcc_lo, v6, v9
	s_wait_alu 0xfffd
	v_add_co_ci_u32_e32 v6, vcc_lo, 0, v10, vcc_lo
	s_delay_alu instid0(VALU_DEP_2) | instskip(SKIP_1) | instid1(VALU_DEP_2)
	v_add_co_u32 v2, vcc_lo, v2, v11
	s_wait_alu 0xfffd
	v_add_co_ci_u32_e32 v2, vcc_lo, v6, v12, vcc_lo
	s_wait_alu 0xfffd
	v_add_co_ci_u32_e32 v6, vcc_lo, 0, v14, vcc_lo
	s_delay_alu instid0(VALU_DEP_2) | instskip(SKIP_1) | instid1(VALU_DEP_2)
	v_add_co_u32 v2, vcc_lo, v2, v13
	s_wait_alu 0xfffd
	v_add_co_ci_u32_e32 v6, vcc_lo, 0, v6, vcc_lo
	s_delay_alu instid0(VALU_DEP_2) | instskip(SKIP_1) | instid1(VALU_DEP_3)
	v_mul_lo_u32 v11, s19, v2
	v_mad_co_u64_u32 v[9:10], null, s18, v2, 0
	v_mul_lo_u32 v12, s18, v6
	s_delay_alu instid0(VALU_DEP_2) | instskip(NEXT) | instid1(VALU_DEP_2)
	v_sub_co_u32 v9, vcc_lo, v7, v9
	v_add3_u32 v10, v10, v12, v11
	s_delay_alu instid0(VALU_DEP_1) | instskip(SKIP_1) | instid1(VALU_DEP_1)
	v_sub_nc_u32_e32 v11, v8, v10
	s_wait_alu 0xfffd
	v_subrev_co_ci_u32_e64 v11, s2, s19, v11, vcc_lo
	v_add_co_u32 v12, s2, v2, 2
	s_wait_alu 0xf1ff
	v_add_co_ci_u32_e64 v13, s2, 0, v6, s2
	v_sub_co_u32 v14, s2, v9, s18
	v_sub_co_ci_u32_e32 v10, vcc_lo, v8, v10, vcc_lo
	s_wait_alu 0xf1ff
	v_subrev_co_ci_u32_e64 v11, s2, 0, v11, s2
	s_delay_alu instid0(VALU_DEP_3) | instskip(NEXT) | instid1(VALU_DEP_3)
	v_cmp_le_u32_e32 vcc_lo, s18, v14
	v_cmp_eq_u32_e64 s2, s19, v10
	s_wait_alu 0xfffd
	v_cndmask_b32_e64 v14, 0, -1, vcc_lo
	v_cmp_le_u32_e32 vcc_lo, s19, v11
	s_wait_alu 0xfffd
	v_cndmask_b32_e64 v15, 0, -1, vcc_lo
	v_cmp_le_u32_e32 vcc_lo, s18, v9
	;; [unrolled: 3-line block ×3, first 2 shown]
	s_wait_alu 0xfffd
	v_cndmask_b32_e64 v16, 0, -1, vcc_lo
	v_cmp_eq_u32_e32 vcc_lo, s19, v11
	s_wait_alu 0xf1ff
	s_delay_alu instid0(VALU_DEP_2)
	v_cndmask_b32_e64 v9, v16, v9, s2
	s_wait_alu 0xfffd
	v_cndmask_b32_e32 v11, v15, v14, vcc_lo
	v_add_co_u32 v14, vcc_lo, v2, 1
	s_wait_alu 0xfffd
	v_add_co_ci_u32_e32 v15, vcc_lo, 0, v6, vcc_lo
	s_delay_alu instid0(VALU_DEP_3) | instskip(SKIP_1) | instid1(VALU_DEP_2)
	v_cmp_ne_u32_e32 vcc_lo, 0, v11
	s_wait_alu 0xfffd
	v_dual_cndmask_b32 v10, v15, v13 :: v_dual_cndmask_b32 v11, v14, v12
	v_cmp_ne_u32_e32 vcc_lo, 0, v9
	s_wait_alu 0xfffd
	s_delay_alu instid0(VALU_DEP_2) | instskip(NEXT) | instid1(VALU_DEP_3)
	v_cndmask_b32_e32 v10, v6, v10, vcc_lo
	v_cndmask_b32_e32 v9, v2, v11, vcc_lo
.LBB0_4:                                ;   in Loop: Header=BB0_2 Depth=1
	s_wait_alu 0xfffe
	s_and_not1_saveexec_b32 s2, s20
	s_cbranch_execz .LBB0_6
; %bb.5:                                ;   in Loop: Header=BB0_2 Depth=1
	v_cvt_f32_u32_e32 v2, s18
	s_sub_co_i32 s20, 0, s18
	s_delay_alu instid0(VALU_DEP_1) | instskip(NEXT) | instid1(TRANS32_DEP_1)
	v_rcp_iflag_f32_e32 v2, v2
	v_mul_f32_e32 v2, 0x4f7ffffe, v2
	s_delay_alu instid0(VALU_DEP_1) | instskip(SKIP_1) | instid1(VALU_DEP_1)
	v_cvt_u32_f32_e32 v2, v2
	s_wait_alu 0xfffe
	v_mul_lo_u32 v6, s20, v2
	s_delay_alu instid0(VALU_DEP_1) | instskip(NEXT) | instid1(VALU_DEP_1)
	v_mul_hi_u32 v6, v2, v6
	v_add_nc_u32_e32 v2, v2, v6
	s_delay_alu instid0(VALU_DEP_1) | instskip(NEXT) | instid1(VALU_DEP_1)
	v_mul_hi_u32 v2, v7, v2
	v_mul_lo_u32 v6, v2, s18
	v_add_nc_u32_e32 v9, 1, v2
	s_delay_alu instid0(VALU_DEP_2) | instskip(NEXT) | instid1(VALU_DEP_1)
	v_sub_nc_u32_e32 v6, v7, v6
	v_subrev_nc_u32_e32 v10, s18, v6
	v_cmp_le_u32_e32 vcc_lo, s18, v6
	s_wait_alu 0xfffd
	s_delay_alu instid0(VALU_DEP_2) | instskip(SKIP_2) | instid1(VALU_DEP_3)
	v_cndmask_b32_e32 v6, v6, v10, vcc_lo
	v_mov_b32_e32 v10, v5
	v_cndmask_b32_e32 v2, v2, v9, vcc_lo
	v_cmp_le_u32_e32 vcc_lo, s18, v6
	s_delay_alu instid0(VALU_DEP_2) | instskip(SKIP_1) | instid1(VALU_DEP_1)
	v_add_nc_u32_e32 v9, 1, v2
	s_wait_alu 0xfffd
	v_cndmask_b32_e32 v9, v2, v9, vcc_lo
.LBB0_6:                                ;   in Loop: Header=BB0_2 Depth=1
	s_wait_alu 0xfffe
	s_or_b32 exec_lo, exec_lo, s2
	s_load_b64 s[20:21], s[12:13], 0x0
	v_mul_lo_u32 v2, v10, s18
	v_mul_lo_u32 v6, v9, s19
	v_mad_co_u64_u32 v[11:12], null, v9, s18, 0
	s_add_nc_u64 s[14:15], s[14:15], 1
	s_add_nc_u64 s[12:13], s[12:13], 8
	s_wait_alu 0xfffe
	v_cmp_ge_u64_e64 s2, s[14:15], s[6:7]
	s_add_nc_u64 s[16:17], s[16:17], 8
	s_delay_alu instid0(VALU_DEP_2) | instskip(NEXT) | instid1(VALU_DEP_3)
	v_add3_u32 v2, v12, v6, v2
	v_sub_co_u32 v6, vcc_lo, v7, v11
	s_wait_alu 0xfffd
	s_delay_alu instid0(VALU_DEP_2) | instskip(SKIP_3) | instid1(VALU_DEP_2)
	v_sub_co_ci_u32_e32 v2, vcc_lo, v8, v2, vcc_lo
	s_and_b32 vcc_lo, exec_lo, s2
	s_wait_kmcnt 0x0
	v_mul_lo_u32 v7, s21, v6
	v_mul_lo_u32 v2, s20, v2
	v_mad_co_u64_u32 v[3:4], null, s20, v6, v[3:4]
	s_delay_alu instid0(VALU_DEP_1)
	v_add3_u32 v4, v7, v4, v2
	s_wait_alu 0xfffe
	s_cbranch_vccnz .LBB0_8
; %bb.7:                                ;   in Loop: Header=BB0_2 Depth=1
	v_dual_mov_b32 v7, v9 :: v_dual_mov_b32 v8, v10
	s_branch .LBB0_2
.LBB0_8:
	s_lshl_b64 s[2:3], s[6:7], 3
	v_mul_hi_u32 v2, 0xaaaaaaab, v1
	s_wait_alu 0xfffe
	s_add_nc_u64 s[2:3], s[10:11], s[2:3]
	s_load_b64 s[0:1], s[0:1], 0x20
	s_load_b64 s[2:3], s[2:3], 0x0
	v_mul_hi_u32 v5, 0x3c3c3c4, v0
	s_delay_alu instid0(VALU_DEP_2) | instskip(NEXT) | instid1(VALU_DEP_1)
	v_lshrrev_b32_e32 v2, 1, v2
	v_lshl_add_u32 v6, v2, 1, v2
	s_delay_alu instid0(VALU_DEP_1)
	v_sub_nc_u32_e32 v1, v1, v6
	s_wait_kmcnt 0x0
	v_cmp_gt_u64_e32 vcc_lo, s[0:1], v[9:10]
	v_mul_lo_u32 v7, s2, v10
	v_mul_lo_u32 v8, s3, v9
	v_mad_co_u64_u32 v[2:3], null, s2, v9, v[3:4]
	v_mul_u32_u24_e32 v4, 0x44, v5
	v_mul_u32_u24_e32 v6, 0x485, v1
	v_mov_b32_e32 v5, 0
	s_delay_alu instid0(VALU_DEP_3) | instskip(NEXT) | instid1(VALU_DEP_3)
	v_sub_nc_u32_e32 v4, v0, v4
	v_lshlrev_b32_e32 v72, 4, v6
	v_add3_u32 v3, v8, v3, v7
	s_delay_alu instid0(VALU_DEP_3) | instskip(NEXT) | instid1(VALU_DEP_2)
	v_mov_b32_e32 v226, v4
	v_lshlrev_b64_e32 v[0:1], 4, v[2:3]
	s_clause 0x1
	scratch_store_b64 off, v[0:1], off offset:12
	scratch_store_b32 off, v6, off
	s_and_saveexec_b32 s1, vcc_lo
	s_cbranch_execz .LBB0_12
; %bb.9:
	scratch_load_b64 v[0:1], off, off offset:12 ; 8-byte Folded Reload
	v_lshlrev_b64_e32 v[2:3], 4, v[4:5]
	s_mov_b32 s2, exec_lo
	s_wait_loadcnt 0x0
	v_add_co_u32 v0, s0, s8, v0
	s_wait_alu 0xf1ff
	v_add_co_ci_u32_e64 v1, s0, s9, v1, s0
	s_delay_alu instid0(VALU_DEP_2) | instskip(SKIP_1) | instid1(VALU_DEP_2)
	v_add_co_u32 v2, s0, v0, v2
	s_wait_alu 0xf1ff
	v_add_co_ci_u32_e64 v3, s0, v1, v3, s0
	s_clause 0x10
	global_load_b128 v[7:10], v[2:3], off
	global_load_b128 v[11:14], v[2:3], off offset:1088
	global_load_b128 v[15:18], v[2:3], off offset:2176
	;; [unrolled: 1-line block ×16, first 2 shown]
	v_lshlrev_b32_e32 v2, 4, v4
	s_delay_alu instid0(VALU_DEP_1)
	v_add3_u32 v6, 0, v72, v2
	v_dual_mov_b32 v2, v4 :: v_dual_mov_b32 v3, v5
	s_wait_loadcnt 0x10
	ds_store_b128 v6, v[7:10]
	s_wait_loadcnt 0xf
	ds_store_b128 v6, v[11:14] offset:1088
	s_wait_loadcnt 0xe
	ds_store_b128 v6, v[15:18] offset:2176
	;; [unrolled: 2-line block ×16, first 2 shown]
	v_cmpx_eq_u32_e32 0x43, v4
	s_cbranch_execz .LBB0_11
; %bb.10:
	global_load_b128 v[7:10], v[0:1], off offset:18496
	v_mov_b32_e32 v2, 0x43
	v_dual_mov_b32 v3, 0 :: v_dual_mov_b32 v4, 0x43
	s_wait_loadcnt 0x0
	ds_store_b128 v6, v[7:10] offset:17424
.LBB0_11:
	s_wait_alu 0xfffe
	s_or_b32 exec_lo, exec_lo, s2
	v_dual_mov_b32 v226, v4 :: v_dual_mov_b32 v5, v3
	v_mov_b32_e32 v4, v2
.LBB0_12:
	s_wait_alu 0xfffe
	s_or_b32 exec_lo, exec_lo, s1
	scratch_load_b32 v0, off, off           ; 4-byte Folded Reload
	global_wb scope:SCOPE_SE
	s_wait_storecnt 0x0
	s_wait_loadcnt_dscnt 0x0
	v_lshlrev_b64_e32 v[4:5], 4, v[4:5]
	s_mov_b32 s1, exec_lo
	v_lshl_add_u32 v1, v0, 4, 0
	v_lshlrev_b32_e32 v0, 4, v226
	scratch_store_b32 off, v1, off offset:84 ; 4-byte Folded Spill
	v_add_nc_u32_e32 v73, v1, v0
	v_sub_nc_u32_e32 v10, v1, v0
	s_wait_storecnt 0x0
	s_barrier_signal -1
	s_barrier_wait -1
	global_inv scope:SCOPE_SE
	ds_load_b64 v[6:7], v73
	ds_load_b64 v[8:9], v10 offset:18496
	scratch_store_b64 off, v[4:5], off offset:4 ; 8-byte Folded Spill
	s_wait_dscnt 0x0
	v_add_f64_e32 v[0:1], v[6:7], v[8:9]
	v_add_f64_e64 v[2:3], v[6:7], -v[8:9]
	v_cmpx_ne_u32_e32 0, v226
	s_wait_alu 0xfffe
	s_xor_b32 s1, exec_lo, s1
	s_cbranch_execz .LBB0_14
; %bb.13:
	scratch_load_b64 v[0:1], off, off offset:4 ; 8-byte Folded Reload
	v_add_f64_e32 v[13:14], v[6:7], v[8:9]
	v_add_f64_e64 v[8:9], v[6:7], -v[8:9]
	s_wait_loadcnt 0x0
	v_add_co_u32 v0, s0, s4, v0
	s_wait_alu 0xf1ff
	v_add_co_ci_u32_e64 v1, s0, s5, v1, s0
	global_load_b128 v[2:5], v[0:1], off offset:18224
	ds_load_b64 v[0:1], v10 offset:18504
	ds_load_b64 v[11:12], v73 offset:8
	s_wait_dscnt 0x0
	v_add_f64_e32 v[6:7], v[0:1], v[11:12]
	v_add_f64_e64 v[0:1], v[11:12], -v[0:1]
	s_wait_loadcnt 0x0
	v_fma_f64 v[11:12], v[8:9], v[4:5], v[13:14]
	v_fma_f64 v[13:14], -v[8:9], v[4:5], v[13:14]
	s_delay_alu instid0(VALU_DEP_3) | instskip(SKIP_1) | instid1(VALU_DEP_4)
	v_fma_f64 v[15:16], v[6:7], v[4:5], -v[0:1]
	v_fma_f64 v[17:18], v[6:7], v[4:5], v[0:1]
	v_fma_f64 v[0:1], -v[6:7], v[2:3], v[11:12]
	s_delay_alu instid0(VALU_DEP_4) | instskip(NEXT) | instid1(VALU_DEP_4)
	v_fma_f64 v[4:5], v[6:7], v[2:3], v[13:14]
	v_fma_f64 v[6:7], v[8:9], v[2:3], v[15:16]
	s_delay_alu instid0(VALU_DEP_4)
	v_fma_f64 v[2:3], v[8:9], v[2:3], v[17:18]
	ds_store_b128 v10, v[4:7] offset:18496
.LBB0_14:
	s_wait_alu 0xfffe
	s_and_not1_saveexec_b32 s0, s1
	s_cbranch_execz .LBB0_16
; %bb.15:
	scratch_load_b32 v4, off, off           ; 4-byte Folded Reload
	s_wait_loadcnt 0x0
	v_lshl_add_u32 v8, v4, 4, 0
	ds_load_b128 v[4:7], v8 offset:9248
	s_wait_dscnt 0x0
	v_add_f64_e32 v[4:5], v[4:5], v[4:5]
	v_mul_f64_e32 v[6:7], -2.0, v[6:7]
	ds_store_b128 v8, v[4:7] offset:9248
.LBB0_16:
	s_wait_alu 0xfffe
	s_or_b32 exec_lo, exec_lo, s0
	v_mov_b32_e32 v227, 0
	s_add_nc_u64 s[0:1], s[4:5], 0x4730
	s_delay_alu instid0(VALU_DEP_1) | instskip(SKIP_1) | instid1(VALU_DEP_1)
	v_lshlrev_b64_e32 v[5:6], 4, v[226:227]
	s_wait_alu 0xfffe
	v_add_co_u32 v4, s0, s0, v5
	scratch_store_b64 off, v[5:6], off offset:20 ; 8-byte Folded Spill
	s_wait_alu 0xf1ff
	v_add_co_ci_u32_e64 v5, s0, s1, v6, s0
	v_cmp_gt_u32_e64 s0, 34, v226
	s_clause 0x1
	global_load_b128 v[6:9], v[4:5], off offset:1088
	global_load_b128 v[11:14], v[4:5], off offset:2176
	ds_store_b128 v73, v[0:3]
	ds_load_b128 v[0:3], v73 offset:1088
	ds_load_b128 v[15:18], v10 offset:17408
	global_load_b128 v[19:22], v[4:5], off offset:3264
	s_wait_dscnt 0x0
	v_add_f64_e32 v[23:24], v[0:1], v[15:16]
	v_add_f64_e32 v[25:26], v[17:18], v[2:3]
	v_add_f64_e64 v[27:28], v[0:1], -v[15:16]
	v_add_f64_e64 v[0:1], v[2:3], -v[17:18]
	s_wait_loadcnt 0x2
	s_delay_alu instid0(VALU_DEP_2) | instskip(NEXT) | instid1(VALU_DEP_2)
	v_fma_f64 v[2:3], v[27:28], v[8:9], v[23:24]
	v_fma_f64 v[15:16], v[25:26], v[8:9], v[0:1]
	v_fma_f64 v[17:18], -v[27:28], v[8:9], v[23:24]
	v_fma_f64 v[8:9], v[25:26], v[8:9], -v[0:1]
	s_delay_alu instid0(VALU_DEP_4) | instskip(NEXT) | instid1(VALU_DEP_4)
	v_fma_f64 v[0:1], -v[25:26], v[6:7], v[2:3]
	v_fma_f64 v[2:3], v[27:28], v[6:7], v[15:16]
	s_delay_alu instid0(VALU_DEP_4) | instskip(NEXT) | instid1(VALU_DEP_4)
	v_fma_f64 v[15:16], v[25:26], v[6:7], v[17:18]
	v_fma_f64 v[17:18], v[27:28], v[6:7], v[8:9]
	ds_store_b128 v73, v[0:3] offset:1088
	ds_store_b128 v10, v[15:18] offset:17408
	ds_load_b128 v[0:3], v73 offset:2176
	ds_load_b128 v[6:9], v10 offset:16320
	global_load_b128 v[15:18], v[4:5], off offset:4352
	s_wait_dscnt 0x0
	v_add_f64_e32 v[23:24], v[0:1], v[6:7]
	v_add_f64_e32 v[25:26], v[8:9], v[2:3]
	v_add_f64_e64 v[27:28], v[0:1], -v[6:7]
	v_add_f64_e64 v[0:1], v[2:3], -v[8:9]
	s_wait_loadcnt 0x2
	s_delay_alu instid0(VALU_DEP_2) | instskip(NEXT) | instid1(VALU_DEP_2)
	v_fma_f64 v[2:3], v[27:28], v[13:14], v[23:24]
	v_fma_f64 v[6:7], v[25:26], v[13:14], v[0:1]
	v_fma_f64 v[8:9], -v[27:28], v[13:14], v[23:24]
	v_fma_f64 v[13:14], v[25:26], v[13:14], -v[0:1]
	s_delay_alu instid0(VALU_DEP_4) | instskip(NEXT) | instid1(VALU_DEP_4)
	v_fma_f64 v[0:1], -v[25:26], v[11:12], v[2:3]
	v_fma_f64 v[2:3], v[27:28], v[11:12], v[6:7]
	s_delay_alu instid0(VALU_DEP_4) | instskip(NEXT) | instid1(VALU_DEP_4)
	v_fma_f64 v[6:7], v[25:26], v[11:12], v[8:9]
	v_fma_f64 v[8:9], v[27:28], v[11:12], v[13:14]
	ds_store_b128 v73, v[0:3] offset:2176
	ds_store_b128 v10, v[6:9] offset:16320
	;; [unrolled: 22-line block ×5, first 2 shown]
	ds_load_b128 v[0:3], v73 offset:6528
	ds_load_b128 v[6:9], v10 offset:11968
	s_wait_dscnt 0x0
	v_add_f64_e32 v[11:12], v[0:1], v[6:7]
	v_add_f64_e32 v[13:14], v[8:9], v[2:3]
	v_add_f64_e64 v[23:24], v[0:1], -v[6:7]
	v_add_f64_e64 v[0:1], v[2:3], -v[8:9]
	s_wait_loadcnt 0x1
	s_delay_alu instid0(VALU_DEP_2) | instskip(NEXT) | instid1(VALU_DEP_2)
	v_fma_f64 v[2:3], v[23:24], v[21:22], v[11:12]
	v_fma_f64 v[6:7], v[13:14], v[21:22], v[0:1]
	v_fma_f64 v[8:9], -v[23:24], v[21:22], v[11:12]
	v_fma_f64 v[11:12], v[13:14], v[21:22], -v[0:1]
	s_delay_alu instid0(VALU_DEP_4) | instskip(NEXT) | instid1(VALU_DEP_4)
	v_fma_f64 v[0:1], -v[13:14], v[19:20], v[2:3]
	v_fma_f64 v[2:3], v[23:24], v[19:20], v[6:7]
	s_delay_alu instid0(VALU_DEP_4) | instskip(NEXT) | instid1(VALU_DEP_4)
	v_fma_f64 v[6:7], v[13:14], v[19:20], v[8:9]
	v_fma_f64 v[8:9], v[23:24], v[19:20], v[11:12]
	ds_store_b128 v73, v[0:3] offset:6528
	ds_store_b128 v10, v[6:9] offset:11968
	ds_load_b128 v[0:3], v73 offset:7616
	ds_load_b128 v[6:9], v10 offset:10880
	s_wait_dscnt 0x0
	v_add_f64_e32 v[11:12], v[0:1], v[6:7]
	v_add_f64_e32 v[13:14], v[8:9], v[2:3]
	v_add_f64_e64 v[19:20], v[0:1], -v[6:7]
	v_add_f64_e64 v[0:1], v[2:3], -v[8:9]
	s_wait_loadcnt 0x0
	s_delay_alu instid0(VALU_DEP_2) | instskip(NEXT) | instid1(VALU_DEP_2)
	v_fma_f64 v[2:3], v[19:20], v[17:18], v[11:12]
	v_fma_f64 v[6:7], v[13:14], v[17:18], v[0:1]
	v_fma_f64 v[8:9], -v[19:20], v[17:18], v[11:12]
	v_fma_f64 v[11:12], v[13:14], v[17:18], -v[0:1]
	s_delay_alu instid0(VALU_DEP_4) | instskip(NEXT) | instid1(VALU_DEP_4)
	v_fma_f64 v[0:1], -v[13:14], v[15:16], v[2:3]
	v_fma_f64 v[2:3], v[19:20], v[15:16], v[6:7]
	s_delay_alu instid0(VALU_DEP_4) | instskip(NEXT) | instid1(VALU_DEP_4)
	v_fma_f64 v[6:7], v[13:14], v[15:16], v[8:9]
	v_fma_f64 v[8:9], v[19:20], v[15:16], v[11:12]
	ds_store_b128 v73, v[0:3] offset:7616
	ds_store_b128 v10, v[6:9] offset:10880
	s_and_saveexec_b32 s1, s0
	s_cbranch_execz .LBB0_18
; %bb.17:
	global_load_b128 v[0:3], v[4:5], off offset:8704
	ds_load_b128 v[4:7], v73 offset:8704
	ds_load_b128 v[11:14], v10 offset:9792
	s_wait_dscnt 0x0
	v_add_f64_e32 v[8:9], v[4:5], v[11:12]
	v_add_f64_e32 v[15:16], v[13:14], v[6:7]
	v_add_f64_e64 v[11:12], v[4:5], -v[11:12]
	v_add_f64_e64 v[4:5], v[6:7], -v[13:14]
	s_wait_loadcnt 0x0
	s_delay_alu instid0(VALU_DEP_2) | instskip(NEXT) | instid1(VALU_DEP_2)
	v_fma_f64 v[6:7], v[11:12], v[2:3], v[8:9]
	v_fma_f64 v[13:14], v[15:16], v[2:3], v[4:5]
	v_fma_f64 v[8:9], -v[11:12], v[2:3], v[8:9]
	v_fma_f64 v[17:18], v[15:16], v[2:3], -v[4:5]
	s_delay_alu instid0(VALU_DEP_4) | instskip(NEXT) | instid1(VALU_DEP_4)
	v_fma_f64 v[2:3], -v[15:16], v[0:1], v[6:7]
	v_fma_f64 v[4:5], v[11:12], v[0:1], v[13:14]
	s_delay_alu instid0(VALU_DEP_4) | instskip(NEXT) | instid1(VALU_DEP_4)
	v_fma_f64 v[6:7], v[15:16], v[0:1], v[8:9]
	v_fma_f64 v[8:9], v[11:12], v[0:1], v[17:18]
	ds_store_b128 v73, v[2:5] offset:8704
	ds_store_b128 v10, v[6:9] offset:9792
.LBB0_18:
	s_wait_alu 0xfffe
	s_or_b32 exec_lo, exec_lo, s1
	v_lshl_add_u32 v0, v226, 4, 0
	global_wb scope:SCOPE_SE
	s_wait_storecnt_dscnt 0x0
	s_barrier_signal -1
	s_barrier_wait -1
	global_inv scope:SCOPE_SE
	v_add_nc_u32_e32 v227, v0, v72
	global_wb scope:SCOPE_SE
	s_barrier_signal -1
	s_barrier_wait -1
	global_inv scope:SCOPE_SE
	ds_load_b128 v[0:3], v73
	ds_load_b128 v[4:7], v227 offset:1088
	ds_load_b128 v[8:11], v227 offset:2176
	;; [unrolled: 1-line block ×3, first 2 shown]
	s_mov_b32 s28, 0x5d8e7cdc
	s_mov_b32 s36, 0x2a9d6da3
	;; [unrolled: 1-line block ×18, first 2 shown]
	s_wait_dscnt 0x2
	v_add_f64_e32 v[16:17], v[0:1], v[4:5]
	v_add_f64_e32 v[18:19], v[2:3], v[6:7]
	s_mov_b32 s27, 0xbfe0d888
	s_mov_b32 s31, 0xbfc7851a
	;; [unrolled: 1-line block ×15, first 2 shown]
	s_wait_alu 0xfffe
	s_mov_b32 s50, s26
	s_mov_b32 s47, 0x3feec746
	;; [unrolled: 1-line block ×11, first 2 shown]
	s_wait_dscnt 0x1
	s_delay_alu instid0(VALU_DEP_2) | instskip(NEXT) | instid1(VALU_DEP_2)
	v_add_f64_e32 v[16:17], v[16:17], v[8:9]
	v_add_f64_e32 v[18:19], v[18:19], v[10:11]
	s_wait_dscnt 0x0
	s_delay_alu instid0(VALU_DEP_2) | instskip(NEXT) | instid1(VALU_DEP_2)
	v_add_f64_e32 v[24:25], v[16:17], v[12:13]
	v_add_f64_e32 v[26:27], v[18:19], v[14:15]
	ds_load_b128 v[16:19], v227 offset:4352
	ds_load_b128 v[20:23], v227 offset:5440
	s_wait_dscnt 0x1
	v_add_f64_e32 v[24:25], v[24:25], v[16:17]
	v_add_f64_e32 v[26:27], v[26:27], v[18:19]
	s_wait_dscnt 0x0
	s_delay_alu instid0(VALU_DEP_2) | instskip(NEXT) | instid1(VALU_DEP_2)
	v_add_f64_e32 v[32:33], v[24:25], v[20:21]
	v_add_f64_e32 v[34:35], v[26:27], v[22:23]
	ds_load_b128 v[24:27], v227 offset:6528
	ds_load_b128 v[28:31], v227 offset:7616
	s_wait_dscnt 0x1
	;; [unrolled: 9-line block ×3, first 2 shown]
	v_add_f64_e64 v[104:105], v[32:33], -v[36:37]
	v_add_f64_e64 v[106:107], v[34:35], -v[38:39]
	v_add_f64_e32 v[44:45], v[40:41], v[32:33]
	v_add_f64_e32 v[46:47], v[42:43], v[34:35]
	;; [unrolled: 1-line block ×4, first 2 shown]
	v_mul_f64_e32 v[148:149], s[40:41], v[104:105]
	v_mul_f64_e32 v[144:145], s[40:41], v[106:107]
	;; [unrolled: 1-line block ×6, first 2 shown]
	v_add_f64_e32 v[48:49], v[44:45], v[36:37]
	v_add_f64_e32 v[50:51], v[46:47], v[38:39]
	ds_load_b128 v[36:39], v227 offset:10880
	ds_load_b128 v[44:47], v227 offset:11968
	s_wait_dscnt 0x1
	v_add_f64_e32 v[32:33], v[28:29], v[36:37]
	v_add_f64_e32 v[34:35], v[30:31], v[38:39]
	v_add_f64_e64 v[108:109], v[28:29], -v[36:37]
	v_add_f64_e64 v[110:111], v[30:31], -v[38:39]
	s_wait_dscnt 0x0
	v_add_f64_e64 v[118:119], v[24:25], -v[44:45]
	v_add_f64_e64 v[126:127], v[26:27], -v[46:47]
	v_add_f64_e32 v[28:29], v[48:49], v[36:37]
	v_add_f64_e32 v[30:31], v[50:51], v[38:39]
	;; [unrolled: 1-line block ×4, first 2 shown]
	v_mul_f64_e32 v[138:139], s[38:39], v[108:109]
	v_mul_f64_e32 v[136:137], s[38:39], v[110:111]
	;; [unrolled: 1-line block ×13, first 2 shown]
	v_add_f64_e32 v[48:49], v[28:29], v[44:45]
	v_add_f64_e32 v[50:51], v[30:31], v[46:47]
	ds_load_b128 v[24:27], v227 offset:13056
	ds_load_b128 v[28:31], v227 offset:14144
	s_wait_dscnt 0x1
	v_add_f64_e32 v[44:45], v[20:21], v[24:25]
	v_add_f64_e32 v[46:47], v[22:23], v[26:27]
	v_add_f64_e64 v[140:141], v[20:21], -v[24:25]
	v_add_f64_e64 v[142:143], v[22:23], -v[26:27]
	s_wait_dscnt 0x0
	v_add_f64_e64 v[146:147], v[16:17], -v[28:29]
	v_add_f64_e64 v[150:151], v[18:19], -v[30:31]
	v_add_f64_e32 v[20:21], v[48:49], v[24:25]
	v_add_f64_e32 v[22:23], v[50:51], v[26:27]
	;; [unrolled: 1-line block ×4, first 2 shown]
	v_mul_f64_e32 v[130:131], s[50:51], v[140:141]
	v_mul_f64_e32 v[246:247], s[44:45], v[142:143]
	;; [unrolled: 1-line block ×7, first 2 shown]
	v_add_f64_e32 v[24:25], v[20:21], v[28:29]
	v_add_f64_e32 v[26:27], v[22:23], v[30:31]
	ds_load_b128 v[16:19], v227 offset:15232
	ds_load_b128 v[20:23], v227 offset:16320
	s_wait_dscnt 0x1
	v_add_f64_e32 v[52:53], v[12:13], v[16:17]
	v_add_f64_e32 v[54:55], v[14:15], v[18:19]
	v_add_f64_e64 v[152:153], v[12:13], -v[16:17]
	v_add_f64_e64 v[154:155], v[14:15], -v[18:19]
	s_wait_dscnt 0x0
	v_add_f64_e32 v[56:57], v[8:9], v[20:21]
	v_add_f64_e32 v[58:59], v[10:11], v[22:23]
	v_add_f64_e64 v[158:159], v[8:9], -v[20:21]
	v_add_f64_e64 v[162:163], v[10:11], -v[22:23]
	ds_load_b128 v[8:11], v227 offset:17408
	v_add_f64_e32 v[12:13], v[24:25], v[16:17]
	v_add_f64_e32 v[14:15], v[26:27], v[18:19]
	s_wait_dscnt 0x0
	v_add_f64_e64 v[16:17], v[6:7], -v[10:11]
	v_add_f64_e32 v[18:19], v[4:5], v[8:9]
	v_mul_f64_e32 v[170:171], s[42:43], v[152:153]
	v_mul_f64_e32 v[238:239], s[46:47], v[154:155]
	;; [unrolled: 1-line block ×8, first 2 shown]
	v_add_f64_e32 v[12:13], v[12:13], v[20:21]
	v_add_f64_e32 v[14:15], v[14:15], v[22:23]
	;; [unrolled: 1-line block ×3, first 2 shown]
	v_add_f64_e64 v[22:23], v[4:5], -v[8:9]
	v_mul_f64_e32 v[24:25], s[22:23], v[16:17]
	v_mul_f64_e32 v[26:27], s[24:25], v[16:17]
	;; [unrolled: 1-line block ×3, first 2 shown]
	v_add_f64_e32 v[4:5], v[12:13], v[8:9]
	v_add_f64_e32 v[6:7], v[14:15], v[10:11]
	v_mul_f64_e32 v[8:9], s[28:29], v[16:17]
	v_mul_f64_e32 v[10:11], s[36:37], v[16:17]
	;; [unrolled: 1-line block ×9, first 2 shown]
	v_fma_f64 v[70:71], v[18:19], s[12:13], -v[24:25]
	v_fma_f64 v[24:25], v[18:19], s[12:13], v[24:25]
	v_fma_f64 v[80:81], v[18:19], s[10:11], -v[26:27]
	v_fma_f64 v[26:27], v[18:19], s[10:11], v[26:27]
	v_fma_f64 v[82:83], v[18:19], s[6:7], -v[28:29]
	v_fma_f64 v[28:29], v[18:19], s[6:7], v[28:29]
	v_mul_f64_e32 v[92:93], s[26:27], v[22:23]
	v_fma_f64 v[30:31], v[18:19], s[20:21], -v[8:9]
	v_fma_f64 v[8:9], v[18:19], s[20:21], v[8:9]
	v_fma_f64 v[60:61], v[18:19], s[18:19], -v[10:11]
	v_fma_f64 v[62:63], v[18:19], s[18:19], v[10:11]
	v_mul_f64_e32 v[10:11], s[28:29], v[22:23]
	v_fma_f64 v[66:67], v[18:19], s[16:17], -v[12:13]
	v_fma_f64 v[12:13], v[18:19], s[16:17], v[12:13]
	v_fma_f64 v[68:69], v[18:19], s[14:15], -v[14:15]
	v_fma_f64 v[14:15], v[18:19], s[14:15], v[14:15]
	;; [unrolled: 2-line block ×3, first 2 shown]
	v_mul_f64_e32 v[18:19], s[36:37], v[22:23]
	v_mul_f64_e32 v[22:23], s[30:31], v[22:23]
	v_fma_f64 v[100:101], v[20:21], s[16:17], -v[64:65]
	v_fma_f64 v[98:99], v[20:21], s[16:17], v[64:65]
	v_fma_f64 v[112:113], v[20:21], s[14:15], v[86:87]
	v_fma_f64 v[86:87], v[20:21], s[14:15], -v[86:87]
	v_fma_f64 v[114:115], v[20:21], s[12:13], v[88:89]
	v_fma_f64 v[88:89], v[20:21], s[12:13], -v[88:89]
	;; [unrolled: 2-line block ×4, first 2 shown]
	v_add_f64_e32 v[200:201], v[0:1], v[70:71]
	v_add_f64_e32 v[204:205], v[0:1], v[24:25]
	;; [unrolled: 1-line block ×5, first 2 shown]
	v_mul_f64_e32 v[70:71], s[44:45], v[152:153]
	v_mul_f64_e32 v[80:81], s[34:35], v[150:151]
	;; [unrolled: 1-line block ×4, first 2 shown]
	v_fma_f64 v[24:25], v[52:53], s[12:13], -v[238:239]
	v_add_f64_e32 v[8:9], v[0:1], v[8:9]
	v_add_f64_e32 v[124:125], v[0:1], v[60:61]
	;; [unrolled: 1-line block ×3, first 2 shown]
	v_fma_f64 v[94:95], v[20:21], s[20:21], v[10:11]
	v_fma_f64 v[10:11], v[20:21], s[20:21], -v[10:11]
	v_mul_f64_e32 v[28:29], s[50:51], v[162:163]
	v_add_f64_e32 v[196:197], v[0:1], v[68:69]
	v_add_f64_e32 v[160:161], v[0:1], v[14:15]
	v_mul_f64_e32 v[68:69], s[44:45], v[154:155]
	v_add_f64_e32 v[194:195], v[0:1], v[16:17]
	v_fma_f64 v[96:97], v[20:21], s[18:19], v[18:19]
	v_fma_f64 v[18:19], v[20:21], s[18:19], -v[18:19]
	v_fma_f64 v[122:123], v[20:21], s[2:3], v[22:23]
	v_fma_f64 v[20:21], v[20:21], s[2:3], -v[22:23]
	v_add_f64_e32 v[22:23], v[0:1], v[30:31]
	v_add_f64_e32 v[168:169], v[2:3], v[98:99]
	;; [unrolled: 1-line block ×8, first 2 shown]
	v_mul_f64_e32 v[88:89], s[24:25], v[126:127]
	v_mul_f64_e32 v[90:91], s[24:25], v[118:119]
	;; [unrolled: 1-line block ×6, first 2 shown]
	scratch_store_b64 off, v[8:9], off offset:28 ; 8-byte Folded Spill
	v_add_f64_e32 v[30:31], v[2:3], v[94:95]
	v_add_f64_e32 v[8:9], v[2:3], v[10:11]
	v_mul_f64_e32 v[94:95], s[26:27], v[108:109]
	v_mul_f64_e32 v[10:11], s[30:31], v[150:151]
	v_add_f64_e32 v[128:129], v[2:3], v[96:97]
	v_mul_f64_e32 v[96:97], s[30:31], v[106:107]
	v_add_f64_e32 v[102:103], v[2:3], v[122:123]
	v_add_f64_e32 v[192:193], v[2:3], v[20:21]
	v_fma_f64 v[14:15], v[58:59], s[14:15], v[114:115]
	v_fma_f64 v[16:17], v[52:53], s[10:11], -v[116:117]
	scratch_store_b64 off, v[8:9], off offset:36 ; 8-byte Folded Spill
	v_add_f64_e32 v[8:9], v[0:1], v[62:63]
	v_add_f64_e32 v[62:63], v[2:3], v[92:93]
	v_mul_f64_e32 v[92:93], s[26:27], v[110:111]
	v_add_f64_e32 v[14:15], v[14:15], v[128:129]
	v_mul_f64_e32 v[128:129], s[50:51], v[142:143]
	scratch_store_b64 off, v[8:9], off offset:52 ; 8-byte Folded Spill
	v_add_f64_e32 v[8:9], v[2:3], v[18:19]
	v_add_f64_e32 v[18:19], v[0:1], v[66:67]
	v_mul_f64_e32 v[66:67], s[36:37], v[158:159]
	scratch_store_b64 off, v[8:9], off offset:44 ; 8-byte Folded Spill
	v_add_f64_e32 v[8:9], v[0:1], v[12:13]
	v_fma_f64 v[12:13], v[52:53], s[16:17], -v[68:69]
	scratch_store_b64 off, v[8:9], off offset:68 ; 8-byte Folded Spill
	v_add_f64_e32 v[8:9], v[2:3], v[100:101]
	v_add_f64_e32 v[100:101], v[0:1], v[84:85]
	v_fma_f64 v[0:1], v[56:57], s[18:19], -v[156:157]
	v_mul_f64_e32 v[84:85], s[22:23], v[142:143]
	scratch_store_b64 off, v[8:9], off offset:60 ; 8-byte Folded Spill
	v_add_f64_e32 v[8:9], v[2:3], v[86:87]
	v_add_f64_e32 v[0:1], v[0:1], v[22:23]
	v_fma_f64 v[2:3], v[58:59], s[18:19], v[66:67]
	v_mul_f64_e32 v[86:87], s[22:23], v[140:141]
	v_fma_f64 v[22:23], v[58:59], s[2:3], v[236:237]
	scratch_store_b64 off, v[8:9], off offset:76 ; 8-byte Folded Spill
	v_add_f64_e32 v[0:1], v[12:13], v[0:1]
	v_add_f64_e32 v[2:3], v[2:3], v[30:31]
	v_fma_f64 v[12:13], v[54:55], s[16:17], v[70:71]
	v_add_f64_e32 v[22:23], v[22:23], v[198:199]
	v_mul_f64_e32 v[30:31], s[50:51], v[158:159]
	s_delay_alu instid0(VALU_DEP_3) | instskip(SKIP_1) | instid1(VALU_DEP_3)
	v_add_f64_e32 v[2:3], v[12:13], v[2:3]
	v_fma_f64 v[12:13], v[48:49], s[14:15], -v[80:81]
	v_fma_f64 v[26:27], v[58:59], s[6:7], v[30:31]
	s_delay_alu instid0(VALU_DEP_2) | instskip(SKIP_1) | instid1(VALU_DEP_3)
	v_add_f64_e32 v[0:1], v[12:13], v[0:1]
	v_fma_f64 v[12:13], v[50:51], s[14:15], v[82:83]
	v_add_f64_e32 v[26:27], v[26:27], v[202:203]
	s_delay_alu instid0(VALU_DEP_2) | instskip(SKIP_1) | instid1(VALU_DEP_1)
	v_add_f64_e32 v[2:3], v[12:13], v[2:3]
	v_fma_f64 v[12:13], v[44:45], s[12:13], -v[84:85]
	v_add_f64_e32 v[0:1], v[12:13], v[0:1]
	v_fma_f64 v[12:13], v[46:47], s[12:13], v[86:87]
	s_delay_alu instid0(VALU_DEP_1) | instskip(SKIP_1) | instid1(VALU_DEP_1)
	v_add_f64_e32 v[2:3], v[12:13], v[2:3]
	v_fma_f64 v[12:13], v[36:37], s[10:11], -v[88:89]
	v_add_f64_e32 v[0:1], v[12:13], v[0:1]
	v_fma_f64 v[12:13], v[38:39], s[10:11], v[90:91]
	s_delay_alu instid0(VALU_DEP_1) | instskip(SKIP_1) | instid1(VALU_DEP_1)
	;; [unrolled: 5-line block ×3, first 2 shown]
	v_add_f64_e32 v[2:3], v[12:13], v[2:3]
	v_fma_f64 v[12:13], v[40:41], s[2:3], -v[96:97]
	v_add_f64_e32 v[120:121], v[12:13], v[0:1]
	v_fma_f64 v[12:13], v[42:43], s[2:3], v[98:99]
	s_delay_alu instid0(VALU_DEP_1) | instskip(SKIP_3) | instid1(VALU_DEP_3)
	v_add_f64_e32 v[122:123], v[12:13], v[2:3]
	v_fma_f64 v[12:13], v[56:57], s[14:15], -v[112:113]
	v_dual_mov_b32 v2, v72 :: v_dual_mov_b32 v3, v73
	v_mul_f64_e32 v[72:73], s[28:29], v[110:111]
	v_add_f64_e32 v[12:13], v[12:13], v[124:125]
	v_mul_f64_e32 v[124:125], s[30:31], v[146:147]
	s_delay_alu instid0(VALU_DEP_2) | instskip(SKIP_1) | instid1(VALU_DEP_1)
	v_add_f64_e32 v[12:13], v[16:17], v[12:13]
	v_fma_f64 v[16:17], v[54:55], s[10:11], v[64:65]
	v_add_f64_e32 v[14:15], v[16:17], v[14:15]
	v_fma_f64 v[16:17], v[48:49], s[2:3], -v[10:11]
	s_delay_alu instid0(VALU_DEP_1) | instskip(SKIP_1) | instid1(VALU_DEP_1)
	v_add_f64_e32 v[12:13], v[16:17], v[12:13]
	v_fma_f64 v[16:17], v[50:51], s[2:3], v[124:125]
	v_add_f64_e32 v[14:15], v[16:17], v[14:15]
	v_fma_f64 v[16:17], v[44:45], s[6:7], -v[128:129]
	s_delay_alu instid0(VALU_DEP_1) | instskip(SKIP_1) | instid1(VALU_DEP_1)
	;; [unrolled: 5-line block ×6, first 2 shown]
	v_add_f64_e32 v[16:17], v[16:17], v[18:19]
	v_fma_f64 v[18:19], v[58:59], s[10:11], v[166:167]
	v_add_f64_e32 v[18:19], v[18:19], v[168:169]
	v_mul_f64_e32 v[168:169], s[42:43], v[154:155]
	s_mov_b32 s43, 0x3fe58eea
	s_mov_b32 s42, s36
	s_wait_alu 0xfffe
	v_mul_f64_e32 v[176:177], s[42:43], v[142:143]
	v_mul_f64_e32 v[178:179], s[42:43], v[140:141]
	;; [unrolled: 1-line block ×4, first 2 shown]
	v_fma_f64 v[20:21], v[52:53], s[2:3], -v[168:169]
	s_delay_alu instid0(VALU_DEP_1) | instskip(SKIP_1) | instid1(VALU_DEP_1)
	v_add_f64_e32 v[16:17], v[20:21], v[16:17]
	v_fma_f64 v[20:21], v[54:55], s[2:3], v[170:171]
	v_add_f64_e32 v[18:19], v[20:21], v[18:19]
	v_fma_f64 v[20:21], v[48:49], s[12:13], -v[172:173]
	s_delay_alu instid0(VALU_DEP_1) | instskip(SKIP_1) | instid1(VALU_DEP_1)
	v_add_f64_e32 v[16:17], v[20:21], v[16:17]
	v_fma_f64 v[20:21], v[50:51], s[12:13], v[174:175]
	v_add_f64_e32 v[18:19], v[20:21], v[18:19]
	v_fma_f64 v[20:21], v[44:45], s[18:19], -v[176:177]
	s_delay_alu instid0(VALU_DEP_1) | instskip(SKIP_1) | instid1(VALU_DEP_1)
	v_add_f64_e32 v[16:17], v[20:21], v[16:17]
	v_fma_f64 v[20:21], v[46:47], s[18:19], v[178:179]
	v_add_f64_e32 v[18:19], v[20:21], v[18:19]
	v_fma_f64 v[20:21], v[36:37], s[20:21], -v[180:181]
	s_delay_alu instid0(VALU_DEP_1) | instskip(SKIP_1) | instid1(VALU_DEP_1)
	v_add_f64_e32 v[16:17], v[20:21], v[16:17]
	v_fma_f64 v[20:21], v[38:39], s[20:21], v[182:183]
	v_add_f64_e32 v[18:19], v[20:21], v[18:19]
	v_fma_f64 v[20:21], v[32:33], s[14:15], -v[184:185]
	s_delay_alu instid0(VALU_DEP_1) | instskip(SKIP_1) | instid1(VALU_DEP_1)
	v_add_f64_e32 v[16:17], v[20:21], v[16:17]
	v_fma_f64 v[20:21], v[34:35], s[14:15], v[186:187]
	v_add_f64_e32 v[18:19], v[20:21], v[18:19]
	v_fma_f64 v[20:21], v[40:41], s[6:7], -v[188:189]
	s_delay_alu instid0(VALU_DEP_1) | instskip(SKIP_1) | instid1(VALU_DEP_1)
	v_add_f64_e32 v[16:17], v[20:21], v[16:17]
	v_fma_f64 v[20:21], v[42:43], s[6:7], v[190:191]
	v_add_f64_e32 v[18:19], v[20:21], v[18:19]
	v_fma_f64 v[20:21], v[56:57], s[2:3], -v[234:235]
	s_delay_alu instid0(VALU_DEP_1) | instskip(SKIP_1) | instid1(VALU_DEP_2)
	v_add_f64_e32 v[20:21], v[20:21], v[196:197]
	v_mul_f64_e32 v[196:197], s[42:43], v[154:155]
	v_add_f64_e32 v[20:21], v[24:25], v[20:21]
	v_fma_f64 v[24:25], v[54:55], s[12:13], v[240:241]
	s_delay_alu instid0(VALU_DEP_3) | instskip(NEXT) | instid1(VALU_DEP_2)
	v_fma_f64 v[198:199], v[52:53], s[18:19], -v[196:197]
	v_add_f64_e32 v[22:23], v[24:25], v[22:23]
	v_fma_f64 v[24:25], v[48:49], s[20:21], -v[242:243]
	s_delay_alu instid0(VALU_DEP_1) | instskip(SKIP_1) | instid1(VALU_DEP_1)
	v_add_f64_e32 v[20:21], v[24:25], v[20:21]
	v_fma_f64 v[24:25], v[50:51], s[20:21], v[244:245]
	v_add_f64_e32 v[22:23], v[24:25], v[22:23]
	v_fma_f64 v[24:25], v[44:45], s[16:17], -v[246:247]
	s_delay_alu instid0(VALU_DEP_1) | instskip(SKIP_1) | instid1(VALU_DEP_1)
	v_add_f64_e32 v[20:21], v[24:25], v[20:21]
	v_fma_f64 v[24:25], v[46:47], s[16:17], v[248:249]
	;; [unrolled: 5-line block ×5, first 2 shown]
	v_add_f64_e32 v[22:23], v[24:25], v[22:23]
	v_fma_f64 v[24:25], v[56:57], s[6:7], -v[28:29]
	s_delay_alu instid0(VALU_DEP_1) | instskip(NEXT) | instid1(VALU_DEP_1)
	v_add_f64_e32 v[24:25], v[24:25], v[200:201]
	v_add_f64_e32 v[24:25], v[198:199], v[24:25]
	v_mul_f64_e32 v[198:199], s[42:43], v[152:153]
	s_delay_alu instid0(VALU_DEP_1) | instskip(NEXT) | instid1(VALU_DEP_1)
	v_fma_f64 v[200:201], v[54:55], s[18:19], v[198:199]
	v_add_f64_e32 v[26:27], v[200:201], v[26:27]
	v_mul_f64_e32 v[200:201], s[44:45], v[150:151]
	s_delay_alu instid0(VALU_DEP_1) | instskip(NEXT) | instid1(VALU_DEP_1)
	v_fma_f64 v[202:203], v[48:49], s[16:17], -v[200:201]
	v_add_f64_e32 v[24:25], v[202:203], v[24:25]
	v_mul_f64_e32 v[202:203], s[44:45], v[146:147]
	s_mov_b32 s45, 0x3fefdd0d
	s_mov_b32 s44, s34
	s_wait_alu 0xfffe
	v_mul_f64_e32 v[222:223], s[44:45], v[126:127]
	v_mul_f64_e32 v[0:1], s[44:45], v[118:119]
	s_delay_alu instid0(VALU_DEP_3) | instskip(NEXT) | instid1(VALU_DEP_1)
	v_fma_f64 v[78:79], v[50:51], s[16:17], v[202:203]
	v_add_f64_e32 v[26:27], v[78:79], v[26:27]
	v_mul_f64_e32 v[78:79], s[30:31], v[142:143]
	s_delay_alu instid0(VALU_DEP_1) | instskip(NEXT) | instid1(VALU_DEP_1)
	v_fma_f64 v[220:221], v[44:45], s[2:3], -v[78:79]
	v_add_f64_e32 v[24:25], v[220:221], v[24:25]
	v_mul_f64_e32 v[220:221], s[30:31], v[140:141]
	s_delay_alu instid0(VALU_DEP_1) | instskip(NEXT) | instid1(VALU_DEP_1)
	v_fma_f64 v[8:9], v[46:47], s[2:3], v[220:221]
	v_add_f64_e32 v[8:9], v[8:9], v[26:27]
	v_fma_f64 v[26:27], v[36:37], s[14:15], -v[222:223]
	s_delay_alu instid0(VALU_DEP_1) | instskip(SKIP_2) | instid1(VALU_DEP_2)
	v_add_f64_e32 v[24:25], v[26:27], v[24:25]
	v_fma_f64 v[26:27], v[38:39], s[14:15], v[0:1]
	v_fma_f64 v[0:1], v[38:39], s[14:15], -v[0:1]
	v_add_f64_e32 v[8:9], v[26:27], v[8:9]
	v_fma_f64 v[26:27], v[32:33], s[20:21], -v[72:73]
	s_delay_alu instid0(VALU_DEP_1) | instskip(SKIP_1) | instid1(VALU_DEP_1)
	v_add_f64_e32 v[24:25], v[26:27], v[24:25]
	v_fma_f64 v[26:27], v[34:35], s[20:21], v[232:233]
	v_add_f64_e32 v[8:9], v[26:27], v[8:9]
	v_fma_f64 v[26:27], v[40:41], s[10:11], -v[230:231]
	s_delay_alu instid0(VALU_DEP_1) | instskip(SKIP_1) | instid1(VALU_DEP_1)
	v_add_f64_e32 v[24:25], v[26:27], v[24:25]
	v_fma_f64 v[26:27], v[42:43], s[10:11], v[228:229]
	v_add_f64_e32 v[26:27], v[26:27], v[8:9]
	v_fma_f64 v[8:9], v[56:57], s[6:7], v[28:29]
	v_fma_f64 v[28:29], v[58:59], s[6:7], -v[30:31]
	v_fma_f64 v[30:31], v[52:53], s[18:19], v[196:197]
	s_delay_alu instid0(VALU_DEP_3) | instskip(NEXT) | instid1(VALU_DEP_3)
	v_add_f64_e32 v[8:9], v[8:9], v[204:205]
	v_add_f64_e32 v[28:29], v[28:29], v[206:207]
	v_mul_f64_e32 v[204:205], s[26:27], v[150:151]
	v_mul_f64_e32 v[206:207], s[26:27], v[146:147]
	s_delay_alu instid0(VALU_DEP_4) | instskip(SKIP_1) | instid1(VALU_DEP_1)
	v_add_f64_e32 v[8:9], v[30:31], v[8:9]
	v_fma_f64 v[30:31], v[54:55], s[18:19], -v[198:199]
	v_add_f64_e32 v[28:29], v[30:31], v[28:29]
	v_fma_f64 v[30:31], v[48:49], s[16:17], v[200:201]
	v_mul_f64_e32 v[200:201], s[28:29], v[154:155]
	s_delay_alu instid0(VALU_DEP_2) | instskip(SKIP_1) | instid1(VALU_DEP_3)
	v_add_f64_e32 v[8:9], v[30:31], v[8:9]
	v_fma_f64 v[30:31], v[50:51], s[16:17], -v[202:203]
	v_fma_f64 v[196:197], v[52:53], s[20:21], -v[200:201]
	v_mul_f64_e32 v[202:203], s[28:29], v[152:153]
	s_delay_alu instid0(VALU_DEP_3) | instskip(SKIP_1) | instid1(VALU_DEP_1)
	v_add_f64_e32 v[28:29], v[30:31], v[28:29]
	v_fma_f64 v[30:31], v[44:45], s[2:3], v[78:79]
	v_add_f64_e32 v[8:9], v[30:31], v[8:9]
	v_fma_f64 v[30:31], v[46:47], s[2:3], -v[220:221]
	v_mul_f64_e32 v[220:221], s[36:37], v[126:127]
	s_delay_alu instid0(VALU_DEP_2) | instskip(SKIP_2) | instid1(VALU_DEP_3)
	v_add_f64_e32 v[28:29], v[30:31], v[28:29]
	v_fma_f64 v[30:31], v[36:37], s[14:15], v[222:223]
	v_mul_f64_e32 v[222:223], s[36:37], v[118:119]
	v_add_f64_e32 v[0:1], v[0:1], v[28:29]
	s_delay_alu instid0(VALU_DEP_3) | instskip(SKIP_4) | instid1(VALU_DEP_4)
	v_add_f64_e32 v[8:9], v[30:31], v[8:9]
	v_fma_f64 v[28:29], v[32:33], s[20:21], v[72:73]
	v_fma_f64 v[30:31], v[42:43], s[10:11], -v[228:229]
	v_mul_f64_e32 v[72:73], s[46:47], v[158:159]
	v_mul_f64_e32 v[228:229], s[30:31], v[110:111]
	v_add_f64_e32 v[8:9], v[28:29], v[8:9]
	v_fma_f64 v[28:29], v[34:35], s[20:21], -v[232:233]
	s_delay_alu instid0(VALU_DEP_4) | instskip(SKIP_2) | instid1(VALU_DEP_4)
	v_fma_f64 v[78:79], v[58:59], s[12:13], v[72:73]
	v_mul_f64_e32 v[232:233], s[38:39], v[106:107]
	v_fma_f64 v[72:73], v[58:59], s[12:13], -v[72:73]
	v_add_f64_e32 v[0:1], v[28:29], v[0:1]
	v_fma_f64 v[28:29], v[40:41], s[10:11], v[230:231]
	v_add_f64_e32 v[78:79], v[78:79], v[210:211]
	v_mul_f64_e32 v[210:211], s[44:45], v[140:141]
	v_mul_f64_e32 v[230:231], s[30:31], v[108:109]
	v_add_f64_e32 v[72:73], v[72:73], v[214:215]
	v_mul_f64_e32 v[214:215], s[48:49], v[146:147]
	v_add_f64_e32 v[30:31], v[30:31], v[0:1]
	;; [unrolled: 2-line block ×3, first 2 shown]
	s_delay_alu instid0(VALU_DEP_2) | instskip(SKIP_1) | instid1(VALU_DEP_2)
	v_fma_f64 v[8:9], v[56:57], s[12:13], -v[0:1]
	v_fma_f64 v[0:1], v[56:57], s[12:13], v[0:1]
	v_add_f64_e32 v[8:9], v[8:9], v[208:209]
	v_mul_f64_e32 v[208:209], s[44:45], v[142:143]
	s_delay_alu instid0(VALU_DEP_3) | instskip(SKIP_1) | instid1(VALU_DEP_4)
	v_add_f64_e32 v[0:1], v[0:1], v[212:213]
	v_mul_f64_e32 v[212:213], s[48:49], v[150:151]
	v_add_f64_e32 v[8:9], v[196:197], v[8:9]
	v_fma_f64 v[196:197], v[54:55], s[20:21], v[202:203]
	s_delay_alu instid0(VALU_DEP_1) | instskip(SKIP_1) | instid1(VALU_DEP_1)
	v_add_f64_e32 v[78:79], v[196:197], v[78:79]
	v_fma_f64 v[196:197], v[48:49], s[6:7], -v[204:205]
	v_add_f64_e32 v[8:9], v[196:197], v[8:9]
	v_fma_f64 v[196:197], v[50:51], s[6:7], v[206:207]
	s_delay_alu instid0(VALU_DEP_1) | instskip(SKIP_1) | instid1(VALU_DEP_1)
	v_add_f64_e32 v[78:79], v[196:197], v[78:79]
	v_fma_f64 v[196:197], v[44:45], s[14:15], -v[208:209]
	;; [unrolled: 5-line block ×5, first 2 shown]
	v_add_f64_e32 v[196:197], v[196:197], v[8:9]
	v_mul_f64_e32 v[8:9], s[38:39], v[104:105]
	s_delay_alu instid0(VALU_DEP_1) | instskip(SKIP_1) | instid1(VALU_DEP_2)
	v_fma_f64 v[198:199], v[42:43], s[16:17], v[8:9]
	v_fma_f64 v[8:9], v[42:43], s[16:17], -v[8:9]
	v_add_f64_e32 v[198:199], v[198:199], v[78:79]
	v_fma_f64 v[78:79], v[52:53], s[20:21], v[200:201]
	s_delay_alu instid0(VALU_DEP_1) | instskip(SKIP_1) | instid1(VALU_DEP_1)
	v_add_f64_e32 v[0:1], v[78:79], v[0:1]
	v_fma_f64 v[78:79], v[54:55], s[20:21], -v[202:203]
	v_add_f64_e32 v[72:73], v[78:79], v[72:73]
	v_fma_f64 v[78:79], v[48:49], s[6:7], v[204:205]
	s_delay_alu instid0(VALU_DEP_1) | instskip(SKIP_1) | instid1(VALU_DEP_1)
	v_add_f64_e32 v[0:1], v[78:79], v[0:1]
	v_fma_f64 v[78:79], v[50:51], s[6:7], -v[206:207]
	v_add_f64_e32 v[72:73], v[78:79], v[72:73]
	v_fma_f64 v[78:79], v[44:45], s[14:15], v[208:209]
	v_mul_f64_e32 v[208:209], s[34:35], v[154:155]
	s_delay_alu instid0(VALU_DEP_2) | instskip(SKIP_1) | instid1(VALU_DEP_3)
	v_add_f64_e32 v[0:1], v[78:79], v[0:1]
	v_fma_f64 v[78:79], v[46:47], s[14:15], -v[210:211]
	v_fma_f64 v[204:205], v[52:53], s[14:15], -v[208:209]
	v_mul_f64_e32 v[210:211], s[34:35], v[152:153]
	s_delay_alu instid0(VALU_DEP_3) | instskip(SKIP_3) | instid1(VALU_DEP_3)
	v_add_f64_e32 v[72:73], v[78:79], v[72:73]
	v_fma_f64 v[78:79], v[36:37], s[18:19], v[220:221]
	v_mul_f64_e32 v[220:221], s[28:29], v[140:141]
	v_mul_f64_e32 v[140:141], s[24:25], v[140:141]
	v_add_f64_e32 v[0:1], v[78:79], v[0:1]
	v_fma_f64 v[78:79], v[38:39], s[18:19], -v[222:223]
	v_mul_f64_e32 v[222:223], s[30:31], v[126:127]
	v_mul_f64_e32 v[126:127], s[38:39], v[126:127]
	s_delay_alu instid0(VALU_DEP_3) | instskip(SKIP_3) | instid1(VALU_DEP_3)
	v_add_f64_e32 v[72:73], v[78:79], v[72:73]
	v_fma_f64 v[78:79], v[32:33], s[2:3], v[228:229]
	v_mul_f64_e32 v[228:229], s[42:43], v[110:111]
	v_mul_f64_e32 v[110:111], s[22:23], v[110:111]
	v_add_f64_e32 v[0:1], v[78:79], v[0:1]
	v_fma_f64 v[78:79], v[34:35], s[2:3], -v[230:231]
	v_mul_f64_e32 v[230:231], s[42:43], v[108:109]
	v_mul_f64_e32 v[108:109], s[22:23], v[108:109]
	s_delay_alu instid0(VALU_DEP_3) | instskip(SKIP_2) | instid1(VALU_DEP_3)
	v_add_f64_e32 v[72:73], v[78:79], v[72:73]
	v_fma_f64 v[78:79], v[40:41], s[16:17], v[232:233]
	v_mul_f64_e32 v[232:233], s[22:23], v[106:107]
	v_add_f64_e32 v[202:203], v[8:9], v[72:73]
	s_delay_alu instid0(VALU_DEP_3) | instskip(SKIP_2) | instid1(VALU_DEP_2)
	v_add_f64_e32 v[200:201], v[78:79], v[0:1]
	v_mul_f64_e32 v[0:1], s[38:39], v[162:163]
	v_mul_f64_e32 v[72:73], s[38:39], v[158:159]
	v_fma_f64 v[8:9], v[56:57], s[16:17], -v[0:1]
	v_fma_f64 v[0:1], v[56:57], s[16:17], v[0:1]
	s_delay_alu instid0(VALU_DEP_3) | instskip(NEXT) | instid1(VALU_DEP_3)
	v_fma_f64 v[78:79], v[58:59], s[16:17], v[72:73]
	v_add_f64_e32 v[8:9], v[8:9], v[216:217]
	s_delay_alu instid0(VALU_DEP_3) | instskip(SKIP_1) | instid1(VALU_DEP_4)
	v_add_f64_e32 v[0:1], v[0:1], v[60:61]
	v_fma_f64 v[60:61], v[58:59], s[16:17], -v[72:73]
	v_add_f64_e32 v[78:79], v[78:79], v[224:225]
	v_mul_f64_e32 v[216:217], s[28:29], v[142:143]
	v_mul_f64_e32 v[224:225], s[30:31], v[118:119]
	;; [unrolled: 1-line block ×5, first 2 shown]
	v_add_f64_e32 v[8:9], v[204:205], v[8:9]
	v_fma_f64 v[204:205], v[54:55], s[14:15], v[210:211]
	v_add_f64_e32 v[60:61], v[60:61], v[62:63]
	v_fma_f64 v[62:63], v[52:53], s[14:15], v[208:209]
	s_delay_alu instid0(VALU_DEP_3) | instskip(SKIP_1) | instid1(VALU_DEP_3)
	v_add_f64_e32 v[78:79], v[204:205], v[78:79]
	v_fma_f64 v[204:205], v[48:49], s[10:11], -v[212:213]
	v_add_f64_e32 v[0:1], v[62:63], v[0:1]
	v_fma_f64 v[62:63], v[54:55], s[14:15], -v[210:211]
	s_delay_alu instid0(VALU_DEP_3) | instskip(SKIP_1) | instid1(VALU_DEP_3)
	v_add_f64_e32 v[8:9], v[204:205], v[8:9]
	v_fma_f64 v[204:205], v[50:51], s[10:11], v[214:215]
	v_add_f64_e32 v[60:61], v[62:63], v[60:61]
	v_fma_f64 v[62:63], v[48:49], s[10:11], v[212:213]
	s_delay_alu instid0(VALU_DEP_3) | instskip(SKIP_1) | instid1(VALU_DEP_3)
	v_add_f64_e32 v[78:79], v[204:205], v[78:79]
	v_fma_f64 v[204:205], v[44:45], s[20:21], -v[216:217]
	v_add_f64_e32 v[0:1], v[62:63], v[0:1]
	v_fma_f64 v[62:63], v[50:51], s[10:11], -v[214:215]
	s_delay_alu instid0(VALU_DEP_3) | instskip(SKIP_1) | instid1(VALU_DEP_3)
	v_add_f64_e32 v[8:9], v[204:205], v[8:9]
	v_fma_f64 v[204:205], v[46:47], s[20:21], v[220:221]
	v_add_f64_e32 v[60:61], v[62:63], v[60:61]
	v_fma_f64 v[62:63], v[44:45], s[20:21], v[216:217]
	s_delay_alu instid0(VALU_DEP_3) | instskip(SKIP_1) | instid1(VALU_DEP_3)
	v_add_f64_e32 v[78:79], v[204:205], v[78:79]
	v_fma_f64 v[204:205], v[36:37], s[2:3], -v[222:223]
	v_add_f64_e32 v[0:1], v[62:63], v[0:1]
	v_fma_f64 v[62:63], v[46:47], s[20:21], -v[220:221]
	v_mov_b32_e32 v221, v2
	s_delay_alu instid0(VALU_DEP_4) | instskip(SKIP_1) | instid1(VALU_DEP_4)
	v_add_f64_e32 v[8:9], v[204:205], v[8:9]
	v_fma_f64 v[204:205], v[38:39], s[2:3], v[224:225]
	v_add_f64_e32 v[60:61], v[62:63], v[60:61]
	v_fma_f64 v[62:63], v[36:37], s[2:3], v[222:223]
	v_mov_b32_e32 v222, v3
	scratch_load_b64 v[2:3], off, off offset:76 th:TH_LOAD_LU ; 8-byte Folded Reload
	v_add_f64_e32 v[78:79], v[204:205], v[78:79]
	v_fma_f64 v[204:205], v[32:33], s[18:19], -v[228:229]
	v_add_f64_e32 v[0:1], v[62:63], v[0:1]
	v_fma_f64 v[62:63], v[38:39], s[2:3], -v[224:225]
	s_delay_alu instid0(VALU_DEP_3) | instskip(SKIP_1) | instid1(VALU_DEP_3)
	v_add_f64_e32 v[8:9], v[204:205], v[8:9]
	v_fma_f64 v[204:205], v[34:35], s[18:19], v[230:231]
	v_add_f64_e32 v[60:61], v[62:63], v[60:61]
	v_fma_f64 v[62:63], v[32:33], s[18:19], v[228:229]
	s_delay_alu instid0(VALU_DEP_3) | instskip(SKIP_1) | instid1(VALU_DEP_3)
	v_add_f64_e32 v[78:79], v[204:205], v[78:79]
	v_fma_f64 v[204:205], v[40:41], s[12:13], -v[232:233]
	v_add_f64_e32 v[0:1], v[62:63], v[0:1]
	v_fma_f64 v[62:63], v[34:35], s[18:19], -v[230:231]
	s_delay_alu instid0(VALU_DEP_3) | instskip(SKIP_1) | instid1(VALU_DEP_3)
	v_add_f64_e32 v[204:205], v[204:205], v[8:9]
	v_mul_f64_e32 v[8:9], s[22:23], v[104:105]
	v_add_f64_e32 v[60:61], v[62:63], v[60:61]
	v_fma_f64 v[62:63], v[40:41], s[12:13], v[232:233]
	s_delay_alu instid0(VALU_DEP_3) | instskip(SKIP_1) | instid1(VALU_DEP_3)
	v_fma_f64 v[206:207], v[42:43], s[12:13], v[8:9]
	v_fma_f64 v[8:9], v[42:43], s[12:13], -v[8:9]
	v_add_f64_e32 v[208:209], v[62:63], v[0:1]
	v_mul_f64_e32 v[0:1], s[40:41], v[162:163]
	s_delay_alu instid0(VALU_DEP_4) | instskip(NEXT) | instid1(VALU_DEP_4)
	v_add_f64_e32 v[206:207], v[206:207], v[78:79]
	v_add_f64_e32 v[210:211], v[8:9], v[60:61]
	v_mul_f64_e32 v[60:61], s[40:41], v[158:159]
	s_delay_alu instid0(VALU_DEP_4) | instskip(SKIP_2) | instid1(VALU_DEP_4)
	v_fma_f64 v[8:9], v[56:57], s[20:21], -v[0:1]
	v_fma_f64 v[78:79], v[52:53], s[6:7], -v[72:73]
	v_fma_f64 v[0:1], v[56:57], s[20:21], v[0:1]
	v_fma_f64 v[62:63], v[58:59], s[20:21], v[60:61]
	s_delay_alu instid0(VALU_DEP_4) | instskip(NEXT) | instid1(VALU_DEP_3)
	v_add_f64_e32 v[8:9], v[8:9], v[100:101]
	v_add_f64_e32 v[0:1], v[0:1], v[194:195]
	s_delay_alu instid0(VALU_DEP_3) | instskip(NEXT) | instid1(VALU_DEP_3)
	v_add_f64_e32 v[62:63], v[62:63], v[102:103]
	v_add_f64_e32 v[8:9], v[78:79], v[8:9]
	v_mul_f64_e32 v[78:79], s[26:27], v[152:153]
	s_delay_alu instid0(VALU_DEP_1) | instskip(NEXT) | instid1(VALU_DEP_1)
	v_fma_f64 v[100:101], v[54:55], s[6:7], v[78:79]
	v_add_f64_e32 v[62:63], v[100:101], v[62:63]
	v_mul_f64_e32 v[100:101], s[42:43], v[150:151]
	v_mul_f64_e32 v[150:151], s[44:45], v[104:105]
	s_delay_alu instid0(VALU_DEP_2) | instskip(NEXT) | instid1(VALU_DEP_1)
	v_fma_f64 v[102:103], v[48:49], s[18:19], -v[100:101]
	v_add_f64_e32 v[8:9], v[102:103], v[8:9]
	v_mul_f64_e32 v[102:103], s[42:43], v[146:147]
	s_delay_alu instid0(VALU_DEP_1) | instskip(NEXT) | instid1(VALU_DEP_1)
	v_fma_f64 v[146:147], v[50:51], s[18:19], v[102:103]
	v_add_f64_e32 v[62:63], v[146:147], v[62:63]
	v_fma_f64 v[146:147], v[44:45], s[10:11], -v[142:143]
	s_delay_alu instid0(VALU_DEP_1) | instskip(SKIP_1) | instid1(VALU_DEP_1)
	v_add_f64_e32 v[8:9], v[146:147], v[8:9]
	v_fma_f64 v[146:147], v[46:47], s[10:11], v[140:141]
	v_add_f64_e32 v[62:63], v[146:147], v[62:63]
	v_fma_f64 v[146:147], v[36:37], s[16:17], -v[126:127]
	s_delay_alu instid0(VALU_DEP_1) | instskip(SKIP_1) | instid1(VALU_DEP_1)
	v_add_f64_e32 v[8:9], v[146:147], v[8:9]
	;; [unrolled: 5-line block ×3, first 2 shown]
	v_fma_f64 v[146:147], v[34:35], s[12:13], v[108:109]
	v_add_f64_e32 v[62:63], v[146:147], v[62:63]
	v_mul_f64_e32 v[146:147], s[44:45], v[106:107]
	s_delay_alu instid0(VALU_DEP_1) | instskip(NEXT) | instid1(VALU_DEP_1)
	v_fma_f64 v[104:105], v[40:41], s[14:15], -v[146:147]
	v_add_f64_e32 v[104:105], v[104:105], v[8:9]
	v_fma_f64 v[8:9], v[42:43], s[14:15], v[150:151]
	s_delay_alu instid0(VALU_DEP_1) | instskip(SKIP_3) | instid1(VALU_DEP_3)
	v_add_f64_e32 v[106:107], v[8:9], v[62:63]
	v_fma_f64 v[8:9], v[58:59], s[20:21], -v[60:61]
	v_fma_f64 v[60:61], v[52:53], s[6:7], v[72:73]
	v_fma_f64 v[62:63], v[42:43], s[14:15], -v[150:151]
	v_add_f64_e32 v[8:9], v[8:9], v[192:193]
	s_delay_alu instid0(VALU_DEP_3) | instskip(SKIP_1) | instid1(VALU_DEP_1)
	v_add_f64_e32 v[0:1], v[60:61], v[0:1]
	v_fma_f64 v[60:61], v[54:55], s[6:7], -v[78:79]
	v_add_f64_e32 v[8:9], v[60:61], v[8:9]
	v_fma_f64 v[60:61], v[48:49], s[18:19], v[100:101]
	s_delay_alu instid0(VALU_DEP_1) | instskip(SKIP_1) | instid1(VALU_DEP_1)
	v_add_f64_e32 v[0:1], v[60:61], v[0:1]
	v_fma_f64 v[60:61], v[50:51], s[18:19], -v[102:103]
	v_add_f64_e32 v[8:9], v[60:61], v[8:9]
	v_fma_f64 v[60:61], v[44:45], s[10:11], v[142:143]
	s_delay_alu instid0(VALU_DEP_1) | instskip(SKIP_1) | instid1(VALU_DEP_1)
	;; [unrolled: 5-line block ×4, first 2 shown]
	v_add_f64_e32 v[0:1], v[60:61], v[0:1]
	v_fma_f64 v[60:61], v[34:35], s[12:13], -v[108:109]
	v_add_f64_e32 v[8:9], v[60:61], v[8:9]
	v_fma_f64 v[60:61], v[40:41], s[14:15], v[146:147]
	s_delay_alu instid0(VALU_DEP_2) | instskip(NEXT) | instid1(VALU_DEP_2)
	v_add_f64_e32 v[110:111], v[62:63], v[8:9]
	v_add_f64_e32 v[108:109], v[60:61], v[0:1]
	v_fma_f64 v[0:1], v[56:57], s[2:3], v[234:235]
	v_fma_f64 v[8:9], v[58:59], s[2:3], -v[236:237]
	v_fma_f64 v[60:61], v[52:53], s[12:13], v[238:239]
	v_fma_f64 v[62:63], v[42:43], s[18:19], -v[218:219]
	s_delay_alu instid0(VALU_DEP_4) | instskip(SKIP_1) | instid1(VALU_DEP_4)
	v_add_f64_e32 v[0:1], v[0:1], v[160:161]
	s_wait_loadcnt 0x0
	v_add_f64_e32 v[8:9], v[8:9], v[2:3]
	scratch_load_b64 v[2:3], off, off offset:68 th:TH_LOAD_LU ; 8-byte Folded Reload
	v_add_f64_e32 v[0:1], v[60:61], v[0:1]
	v_fma_f64 v[60:61], v[54:55], s[12:13], -v[240:241]
	s_delay_alu instid0(VALU_DEP_1) | instskip(SKIP_1) | instid1(VALU_DEP_1)
	v_add_f64_e32 v[8:9], v[60:61], v[8:9]
	v_fma_f64 v[60:61], v[48:49], s[20:21], v[242:243]
	v_add_f64_e32 v[0:1], v[60:61], v[0:1]
	v_fma_f64 v[60:61], v[50:51], s[20:21], -v[244:245]
	s_delay_alu instid0(VALU_DEP_1) | instskip(SKIP_1) | instid1(VALU_DEP_1)
	v_add_f64_e32 v[8:9], v[60:61], v[8:9]
	v_fma_f64 v[60:61], v[44:45], s[16:17], v[246:247]
	v_add_f64_e32 v[0:1], v[60:61], v[0:1]
	v_fma_f64 v[60:61], v[46:47], s[16:17], -v[248:249]
	s_delay_alu instid0(VALU_DEP_1) | instskip(SKIP_1) | instid1(VALU_DEP_1)
	v_add_f64_e32 v[8:9], v[60:61], v[8:9]
	v_fma_f64 v[60:61], v[36:37], s[6:7], v[250:251]
	v_add_f64_e32 v[0:1], v[60:61], v[0:1]
	v_fma_f64 v[60:61], v[38:39], s[6:7], -v[252:253]
	s_delay_alu instid0(VALU_DEP_1) | instskip(SKIP_1) | instid1(VALU_DEP_1)
	v_add_f64_e32 v[8:9], v[60:61], v[8:9]
	v_fma_f64 v[60:61], v[32:33], s[10:11], v[254:255]
	v_add_f64_e32 v[0:1], v[60:61], v[0:1]
	v_fma_f64 v[60:61], v[34:35], s[10:11], -v[74:75]
	s_delay_alu instid0(VALU_DEP_1) | instskip(SKIP_1) | instid1(VALU_DEP_2)
	v_add_f64_e32 v[8:9], v[60:61], v[8:9]
	v_fma_f64 v[60:61], v[40:41], s[18:19], v[76:77]
	v_add_f64_e32 v[142:143], v[62:63], v[8:9]
	s_delay_alu instid0(VALU_DEP_2)
	v_add_f64_e32 v[140:141], v[60:61], v[0:1]
	v_fma_f64 v[0:1], v[56:57], s[10:11], v[164:165]
	v_fma_f64 v[8:9], v[58:59], s[10:11], -v[166:167]
	v_fma_f64 v[60:61], v[52:53], s[2:3], v[168:169]
	v_fma_f64 v[62:63], v[42:43], s[6:7], -v[190:191]
	s_wait_loadcnt 0x0
	s_delay_alu instid0(VALU_DEP_4)
	v_add_f64_e32 v[0:1], v[0:1], v[2:3]
	scratch_load_b64 v[2:3], off, off offset:60 th:TH_LOAD_LU ; 8-byte Folded Reload
	v_add_f64_e32 v[0:1], v[60:61], v[0:1]
	v_fma_f64 v[60:61], v[54:55], s[2:3], -v[170:171]
	s_wait_loadcnt 0x0
	v_add_f64_e32 v[8:9], v[8:9], v[2:3]
	scratch_load_b64 v[2:3], off, off offset:52 th:TH_LOAD_LU ; 8-byte Folded Reload
	v_add_f64_e32 v[8:9], v[60:61], v[8:9]
	v_fma_f64 v[60:61], v[48:49], s[12:13], v[172:173]
	s_delay_alu instid0(VALU_DEP_1) | instskip(SKIP_1) | instid1(VALU_DEP_1)
	v_add_f64_e32 v[0:1], v[60:61], v[0:1]
	v_fma_f64 v[60:61], v[50:51], s[12:13], -v[174:175]
	v_add_f64_e32 v[8:9], v[60:61], v[8:9]
	v_fma_f64 v[60:61], v[44:45], s[18:19], v[176:177]
	s_delay_alu instid0(VALU_DEP_1) | instskip(SKIP_1) | instid1(VALU_DEP_1)
	v_add_f64_e32 v[0:1], v[60:61], v[0:1]
	v_fma_f64 v[60:61], v[46:47], s[18:19], -v[178:179]
	;; [unrolled: 5-line block ×4, first 2 shown]
	v_add_f64_e32 v[8:9], v[60:61], v[8:9]
	v_fma_f64 v[60:61], v[40:41], s[6:7], v[188:189]
	s_delay_alu instid0(VALU_DEP_2) | instskip(NEXT) | instid1(VALU_DEP_2)
	v_add_f64_e32 v[102:103], v[62:63], v[8:9]
	v_add_f64_e32 v[100:101], v[60:61], v[0:1]
	v_fma_f64 v[0:1], v[56:57], s[14:15], v[112:113]
	v_fma_f64 v[8:9], v[58:59], s[14:15], -v[114:115]
	v_fma_f64 v[60:61], v[52:53], s[10:11], v[116:117]
	s_wait_loadcnt 0x0
	s_delay_alu instid0(VALU_DEP_3)
	v_add_f64_e32 v[0:1], v[0:1], v[2:3]
	scratch_load_b64 v[2:3], off, off offset:44 th:TH_LOAD_LU ; 8-byte Folded Reload
	v_add_f64_e32 v[0:1], v[60:61], v[0:1]
	s_wait_loadcnt 0x0
	v_add_f64_e32 v[8:9], v[8:9], v[2:3]
	v_fma_f64 v[2:3], v[54:55], s[10:11], -v[64:65]
	s_delay_alu instid0(VALU_DEP_1) | instskip(SKIP_2) | instid1(VALU_DEP_2)
	v_add_f64_e32 v[2:3], v[2:3], v[8:9]
	v_fma_f64 v[8:9], v[48:49], s[2:3], v[10:11]
	v_fma_f64 v[10:11], v[42:43], s[20:21], -v[148:149]
	v_add_f64_e32 v[0:1], v[8:9], v[0:1]
	v_fma_f64 v[8:9], v[50:51], s[2:3], -v[124:125]
	s_delay_alu instid0(VALU_DEP_1) | instskip(SKIP_1) | instid1(VALU_DEP_1)
	v_add_f64_e32 v[2:3], v[8:9], v[2:3]
	v_fma_f64 v[8:9], v[44:45], s[6:7], v[128:129]
	v_add_f64_e32 v[0:1], v[8:9], v[0:1]
	v_fma_f64 v[8:9], v[46:47], s[6:7], -v[130:131]
	s_delay_alu instid0(VALU_DEP_1) | instskip(SKIP_1) | instid1(VALU_DEP_1)
	v_add_f64_e32 v[2:3], v[8:9], v[2:3]
	v_fma_f64 v[8:9], v[36:37], s[12:13], v[132:133]
	;; [unrolled: 5-line block ×3, first 2 shown]
	v_add_f64_e32 v[0:1], v[8:9], v[0:1]
	v_fma_f64 v[8:9], v[34:35], s[16:17], -v[138:139]
	s_delay_alu instid0(VALU_DEP_1) | instskip(SKIP_1) | instid1(VALU_DEP_2)
	v_add_f64_e32 v[2:3], v[8:9], v[2:3]
	v_fma_f64 v[8:9], v[40:41], s[20:21], v[144:145]
	v_add_f64_e32 v[114:115], v[10:11], v[2:3]
	s_delay_alu instid0(VALU_DEP_2)
	v_add_f64_e32 v[112:113], v[8:9], v[0:1]
	scratch_load_b64 v[8:9], off, off offset:28 th:TH_LOAD_LU ; 8-byte Folded Reload
	v_fma_f64 v[0:1], v[56:57], s[18:19], v[156:157]
	v_fma_f64 v[2:3], v[58:59], s[18:19], -v[66:67]
	v_fma_f64 v[10:11], v[54:55], s[16:17], -v[70:71]
	s_wait_loadcnt 0x0
	s_delay_alu instid0(VALU_DEP_3)
	v_add_f64_e32 v[0:1], v[0:1], v[8:9]
	scratch_load_b64 v[8:9], off, off offset:36 th:TH_LOAD_LU ; 8-byte Folded Reload
	global_wb scope:SCOPE_SE
	s_wait_loadcnt 0x0
	s_wait_storecnt 0x0
	s_barrier_signal -1
	s_barrier_wait -1
	global_inv scope:SCOPE_SE
	v_add_f64_e32 v[2:3], v[2:3], v[8:9]
	v_fma_f64 v[8:9], v[52:53], s[16:17], v[68:69]
	s_delay_alu instid0(VALU_DEP_2) | instskip(NEXT) | instid1(VALU_DEP_2)
	v_add_f64_e32 v[2:3], v[10:11], v[2:3]
	v_add_f64_e32 v[0:1], v[8:9], v[0:1]
	v_fma_f64 v[8:9], v[48:49], s[14:15], v[80:81]
	v_fma_f64 v[10:11], v[50:51], s[14:15], -v[82:83]
	s_delay_alu instid0(VALU_DEP_2) | instskip(NEXT) | instid1(VALU_DEP_2)
	v_add_f64_e32 v[0:1], v[8:9], v[0:1]
	v_add_f64_e32 v[2:3], v[10:11], v[2:3]
	v_fma_f64 v[8:9], v[44:45], s[12:13], v[84:85]
	v_fma_f64 v[10:11], v[46:47], s[12:13], -v[86:87]
	;; [unrolled: 5-line block ×3, first 2 shown]
                                        ; implicit-def: $vgpr38_vgpr39
	s_delay_alu instid0(VALU_DEP_2) | instskip(NEXT) | instid1(VALU_DEP_2)
	v_add_f64_e32 v[0:1], v[8:9], v[0:1]
	v_add_f64_e32 v[2:3], v[10:11], v[2:3]
	v_fma_f64 v[8:9], v[32:33], s[6:7], v[92:93]
	v_fma_f64 v[10:11], v[34:35], s[6:7], -v[94:95]
	s_delay_alu instid0(VALU_DEP_2) | instskip(NEXT) | instid1(VALU_DEP_2)
	v_add_f64_e32 v[0:1], v[8:9], v[0:1]
	v_add_f64_e32 v[2:3], v[10:11], v[2:3]
	v_fma_f64 v[8:9], v[40:41], s[2:3], v[96:97]
	v_fma_f64 v[10:11], v[42:43], s[2:3], -v[98:99]
	s_delay_alu instid0(VALU_DEP_2) | instskip(NEXT) | instid1(VALU_DEP_2)
	v_add_f64_e32 v[8:9], v[8:9], v[0:1]
	v_add_f64_e32 v[10:11], v[10:11], v[2:3]
	v_mul_u32_u24_e32 v0, 0x110, v226
	s_delay_alu instid0(VALU_DEP_1)
	v_add3_u32 v0, 0, v0, v221
	ds_store_b128 v0, v[4:7]
	ds_store_b128 v0, v[120:123] offset:16
	ds_store_b128 v0, v[12:15] offset:32
	;; [unrolled: 1-line block ×16, first 2 shown]
	global_wb scope:SCOPE_SE
	s_wait_dscnt 0x0
	s_barrier_signal -1
	s_barrier_wait -1
	global_inv scope:SCOPE_SE
	ds_load_b128 v[0:3], v222
	ds_load_b128 v[4:7], v227 offset:1088
	ds_load_b128 v[44:47], v227 offset:9248
	;; [unrolled: 1-line block ×15, first 2 shown]
	s_and_saveexec_b32 s1, s0
	s_cbranch_execz .LBB0_20
; %bb.19:
	ds_load_b128 v[8:11], v227 offset:8704
	ds_load_b128 v[36:39], v227 offset:17952
.LBB0_20:
	s_wait_alu 0xfffe
	s_or_b32 exec_lo, exec_lo, s1
	v_add_nc_u16 v72, v226, 0x44
	v_add_nc_u16 v75, v226, 0x88
	v_add_nc_u32_e32 v73, 0xcc, v226
	v_and_b32_e32 v76, 0xff, v226
	v_add_nc_u32_e32 v74, 0x110, v226
	v_and_b32_e32 v77, 0xff, v72
	v_and_b32_e32 v80, 0xff, v75
	;; [unrolled: 1-line block ×3, first 2 shown]
	v_add_nc_u32_e32 v78, 0x154, v226
	v_mul_lo_u16 v76, 0xf1, v76
	v_mul_lo_u16 v77, 0xf1, v77
	;; [unrolled: 1-line block ×3, first 2 shown]
	v_add_nc_u32_e32 v81, 0x1dc, v226
	v_mul_u32_u24_e32 v82, 0xf0f1, v82
	v_add_nc_u32_e32 v79, 0x198, v226
	v_lshrrev_b16 v127, 12, v77
	v_lshrrev_b16 v128, 12, v80
	;; [unrolled: 1-line block ×3, first 2 shown]
	v_and_b32_e32 v76, 0xffff, v74
	v_and_b32_e32 v77, 0xffff, v78
	v_mul_lo_u16 v83, v127, 17
	v_mul_lo_u16 v85, v128, 17
	v_and_b32_e32 v90, 0xffff, v81
	v_lshrrev_b32_e32 v131, 20, v82
	v_and_b32_e32 v84, 0xffff, v79
	v_sub_nc_u16 v72, v72, v83
	v_sub_nc_u16 v75, v75, v85
	v_mul_u32_u24_e32 v76, 0xf0f1, v76
	v_mul_u32_u24_e32 v77, 0xf0f1, v77
	v_mul_lo_u16 v80, v126, 17
	v_and_b32_e32 v72, 0xff, v72
	v_and_b32_e32 v75, 0xff, v75
	v_mul_u32_u24_e32 v91, 0xf0f1, v84
	v_lshrrev_b32_e32 v132, 20, v76
	v_lshrrev_b32_e32 v134, 20, v77
	v_lshlrev_b32_e32 v130, 4, v72
	v_lshlrev_b32_e32 v133, 4, v75
	v_mul_u32_u24_e32 v72, 0xf0f1, v90
	v_mul_lo_u16 v75, v131, 17
	v_sub_nc_u16 v80, v226, v80
	v_lshrrev_b32_e32 v135, 20, v91
	v_mul_lo_u16 v76, v132, 17
	v_lshrrev_b32_e32 v136, 20, v72
	v_sub_nc_u16 v72, v73, v75
	v_mul_lo_u16 v73, v134, 17
	v_and_b32_e32 v80, 0xff, v80
	v_mul_lo_u16 v75, v135, 17
	v_sub_nc_u16 v74, v74, v76
	v_and_b32_e32 v72, 0xffff, v72
	v_sub_nc_u16 v73, v78, v73
	v_mul_lo_u16 v76, v136, 17
	v_lshlrev_b32_e32 v129, 4, v80
	v_sub_nc_u16 v75, v79, v75
	v_lshlrev_b32_e32 v137, 4, v72
	v_and_b32_e32 v74, 0xffff, v74
	v_and_b32_e32 v72, 0xffff, v73
	v_add_nc_u32_e32 v224, 0x220, v226
	v_sub_nc_u16 v76, v81, v76
	s_clause 0x3
	global_load_b128 v[82:85], v129, s[4:5]
	global_load_b128 v[86:89], v130, s[4:5]
	;; [unrolled: 1-line block ×4, first 2 shown]
	v_and_b32_e32 v73, 0xffff, v75
	v_lshlrev_b32_e32 v138, 4, v74
	v_lshlrev_b32_e32 v139, 4, v72
	v_and_b32_e32 v72, 0xffff, v224
	v_and_b32_e32 v74, 0xffff, v76
	v_lshlrev_b32_e32 v140, 4, v73
	s_clause 0x2
	global_load_b128 v[98:101], v138, s[4:5]
	global_load_b128 v[102:105], v139, s[4:5]
	;; [unrolled: 1-line block ×3, first 2 shown]
	v_mul_u32_u24_e32 v72, 0xf0f1, v72
	v_lshlrev_b32_e32 v141, 4, v74
	s_delay_alu instid0(VALU_DEP_2) | instskip(SKIP_2) | instid1(VALU_DEP_1)
	v_lshrrev_b32_e32 v80, 20, v72
	global_load_b128 v[110:113], v141, s[4:5]
	v_mul_lo_u16 v72, v80, 17
	v_sub_nc_u16 v72, v224, v72
	s_delay_alu instid0(VALU_DEP_1) | instskip(NEXT) | instid1(VALU_DEP_1)
	v_and_b32_e32 v81, 0xffff, v72
	v_lshlrev_b32_e32 v72, 4, v81
	global_load_b128 v[114:117], v72, s[4:5]
	global_wb scope:SCOPE_SE
	s_wait_loadcnt_dscnt 0x0
	s_barrier_signal -1
	s_barrier_wait -1
	global_inv scope:SCOPE_SE
	v_mul_f64_e32 v[72:73], v[46:47], v[84:85]
	v_mul_f64_e32 v[74:75], v[44:45], v[84:85]
	;; [unrolled: 1-line block ×16, first 2 shown]
	v_fma_f64 v[44:45], v[44:45], v[82:83], -v[72:73]
	v_fma_f64 v[46:47], v[46:47], v[82:83], v[74:75]
	v_fma_f64 v[72:73], v[40:41], v[86:87], -v[76:77]
	v_fma_f64 v[74:75], v[42:43], v[86:87], v[78:79]
	;; [unrolled: 2-line block ×3, first 2 shown]
	v_fma_f64 v[76:77], v[48:49], v[94:95], -v[92:93]
	v_mul_f64_e32 v[90:91], v[38:39], v[116:117]
	v_mul_f64_e32 v[92:93], v[36:37], v[116:117]
	v_fma_f64 v[78:79], v[50:51], v[94:95], v[96:97]
	v_fma_f64 v[60:61], v[60:61], v[98:99], -v[118:119]
	v_fma_f64 v[62:63], v[62:63], v[98:99], v[100:101]
	v_fma_f64 v[82:83], v[56:57], v[102:103], -v[120:121]
	;; [unrolled: 2-line block ×4, first 2 shown]
	v_fma_f64 v[88:89], v[66:67], v[110:111], v[112:113]
	v_add_f64_e64 v[40:41], v[0:1], -v[44:45]
	v_add_f64_e64 v[42:43], v[2:3], -v[46:47]
	;; [unrolled: 1-line block ×7, first 2 shown]
	v_fma_f64 v[72:73], v[36:37], v[114:115], -v[90:91]
	v_fma_f64 v[74:75], v[38:39], v[114:115], v[92:93]
	v_add_f64_e64 v[54:55], v[18:19], -v[78:79]
	v_add_f64_e64 v[56:57], v[20:21], -v[60:61]
	;; [unrolled: 1-line block ×7, first 2 shown]
	v_and_b32_e32 v36, 0xffff, v126
	v_mad_u32_u24 v77, 0x220, v134, 0
	v_mad_u32_u24 v78, 0x220, v135, 0
	;; [unrolled: 1-line block ×3, first 2 shown]
	v_add_f64_e64 v[68:69], v[32:33], -v[86:87]
	v_add_f64_e64 v[70:71], v[34:35], -v[88:89]
	v_mad_u32_u24 v76, 0x220, v36, 0
	v_add3_u32 v77, v77, v139, v221
	v_add3_u32 v78, v78, v140, v221
	;; [unrolled: 1-line block ×3, first 2 shown]
	s_delay_alu instid0(VALU_DEP_4)
	v_add3_u32 v76, v76, v129, v221
	v_fma_f64 v[36:37], v[0:1], 2.0, -v[40:41]
	v_fma_f64 v[38:39], v[2:3], 2.0, -v[42:43]
	;; [unrolled: 1-line block ×7, first 2 shown]
	v_add_f64_e64 v[0:1], v[8:9], -v[72:73]
	v_add_f64_e64 v[2:3], v[10:11], -v[74:75]
	v_fma_f64 v[18:19], v[18:19], 2.0, -v[54:55]
	v_fma_f64 v[20:21], v[20:21], 2.0, -v[56:57]
	;; [unrolled: 1-line block ×7, first 2 shown]
	v_and_b32_e32 v72, 0xffff, v127
	v_and_b32_e32 v73, 0xffff, v128
	v_mad_u32_u24 v74, 0x220, v131, 0
	v_mad_u32_u24 v75, 0x220, v132, 0
	v_fma_f64 v[32:33], v[32:33], 2.0, -v[68:69]
	v_fma_f64 v[34:35], v[34:35], 2.0, -v[70:71]
	v_mad_u32_u24 v72, 0x220, v72, 0
	v_mad_u32_u24 v73, 0x220, v73, 0
	v_add3_u32 v74, v74, v137, v221
	v_add3_u32 v75, v75, v138, v221
	s_delay_alu instid0(VALU_DEP_4) | instskip(NEXT) | instid1(VALU_DEP_4)
	v_add3_u32 v72, v72, v130, v221
	v_add3_u32 v73, v73, v133, v221
	ds_store_b128 v76, v[36:39]
	ds_store_b128 v76, v[40:43] offset:272
	ds_store_b128 v72, v[4:7]
	ds_store_b128 v72, v[44:47] offset:272
	;; [unrolled: 2-line block ×8, first 2 shown]
	s_and_saveexec_b32 s1, s0
	s_cbranch_execz .LBB0_22
; %bb.21:
	v_fma_f64 v[6:7], v[10:11], 2.0, -v[2:3]
	v_fma_f64 v[4:5], v[8:9], 2.0, -v[0:1]
	v_mul_lo_u16 v8, v80, 34
	v_lshl_add_u32 v9, v81, 4, 0
	s_delay_alu instid0(VALU_DEP_2) | instskip(NEXT) | instid1(VALU_DEP_1)
	v_and_b32_e32 v8, 0xffff, v8
	v_lshlrev_b32_e32 v8, 4, v8
	s_delay_alu instid0(VALU_DEP_1)
	v_add3_u32 v8, v9, v8, v221
	ds_store_b128 v8, v[4:7]
	ds_store_b128 v8, v[0:3] offset:272
.LBB0_22:
	s_wait_alu 0xfffe
	s_or_b32 exec_lo, exec_lo, s1
	v_subrev_nc_u32_e32 v80, 34, v226
	global_wb scope:SCOPE_SE
	s_wait_dscnt 0x0
	s_barrier_signal -1
	s_barrier_wait -1
	global_inv scope:SCOPE_SE
	v_cndmask_b32_e64 v4, v80, v226, s0
	v_mov_b32_e32 v45, 0
	s_mov_b32 s38, 0x7c9e640b
	s_mov_b32 s20, 0x923c349f
	;; [unrolled: 1-line block ×3, first 2 shown]
	v_lshlrev_b32_e32 v44, 4, v4
	s_mov_b32 s24, 0x4363dd80
	s_mov_b32 s39, 0xbfeca52d
	;; [unrolled: 1-line block ×4, first 2 shown]
	v_lshlrev_b64_e32 v[4:5], 4, v[44:45]
	s_mov_b32 s25, 0xbfe0d888
	s_mov_b32 s26, 0x7faef3
	;; [unrolled: 1-line block ×5, first 2 shown]
	v_add_co_u32 v24, s1, s4, v4
	s_wait_alu 0xf1ff
	v_add_co_ci_u32_e64 v25, s1, s5, v5, s1
	s_mov_b32 s3, 0x3fb79ee6
	s_mov_b32 s11, 0xbfd183b1
	;; [unrolled: 1-line block ×3, first 2 shown]
	s_clause 0x3
	global_load_b128 v[16:19], v[24:25], off offset:272
	global_load_b128 v[12:15], v[24:25], off offset:288
	;; [unrolled: 1-line block ×4, first 2 shown]
	ds_load_b128 v[20:23], v227 offset:1088
	ds_load_b128 v[119:122], v222
	ds_load_b128 v[26:29], v227 offset:2176
	s_mov_b32 s12, 0x75d4884
	s_mov_b32 s6, 0x2b2883cd
	;; [unrolled: 1-line block ×10, first 2 shown]
	s_wait_alu 0xfffe
	s_mov_b32 s48, s24
	s_mov_b32 s46, s20
	;; [unrolled: 1-line block ×10, first 2 shown]
	v_cmp_lt_u32_e64 s1, 33, v226
	s_wait_loadcnt_dscnt 0x302
	v_mul_f64_e32 v[30:31], v[22:23], v[18:19]
	v_mul_f64_e32 v[18:19], v[20:21], v[18:19]
	s_delay_alu instid0(VALU_DEP_2) | instskip(NEXT) | instid1(VALU_DEP_2)
	v_fma_f64 v[20:21], v[20:21], v[16:17], -v[30:31]
	v_fma_f64 v[22:23], v[22:23], v[16:17], v[18:19]
	ds_load_b128 v[16:19], v227 offset:3264
	s_wait_loadcnt_dscnt 0x201
	v_mul_f64_e32 v[30:31], v[28:29], v[14:15]
	v_mul_f64_e32 v[14:15], v[26:27], v[14:15]
	v_add_f64_e32 v[117:118], v[121:122], v[22:23]
	s_delay_alu instid0(VALU_DEP_3) | instskip(NEXT) | instid1(VALU_DEP_3)
	v_fma_f64 v[45:46], v[26:27], v[12:13], -v[30:31]
	v_fma_f64 v[47:48], v[28:29], v[12:13], v[14:15]
	s_wait_loadcnt_dscnt 0x100
	v_mul_f64_e32 v[14:15], v[18:19], v[10:11]
	v_mul_f64_e32 v[26:27], v[16:17], v[10:11]
	ds_load_b128 v[10:13], v227 offset:4352
	v_fma_f64 v[49:50], v[16:17], v[8:9], -v[14:15]
	ds_load_b128 v[14:17], v227 offset:5440
	v_fma_f64 v[51:52], v[18:19], v[8:9], v[26:27]
	s_wait_loadcnt_dscnt 0x1
	v_mul_f64_e32 v[8:9], v[12:13], v[6:7]
	v_mul_f64_e32 v[6:7], v[10:11], v[6:7]
	s_delay_alu instid0(VALU_DEP_2) | instskip(NEXT) | instid1(VALU_DEP_2)
	v_fma_f64 v[53:54], v[10:11], v[4:5], -v[8:9]
	v_fma_f64 v[55:56], v[12:13], v[4:5], v[6:7]
	s_clause 0x1
	global_load_b128 v[4:7], v[24:25], off offset:336
	global_load_b128 v[8:11], v[24:25], off offset:352
	s_wait_loadcnt_dscnt 0x100
	v_mul_f64_e32 v[12:13], v[16:17], v[6:7]
	v_mul_f64_e32 v[6:7], v[14:15], v[6:7]
	s_delay_alu instid0(VALU_DEP_2) | instskip(NEXT) | instid1(VALU_DEP_2)
	v_fma_f64 v[57:58], v[14:15], v[4:5], -v[12:13]
	v_fma_f64 v[59:60], v[16:17], v[4:5], v[6:7]
	ds_load_b128 v[4:7], v227 offset:6528
	ds_load_b128 v[12:15], v227 offset:7616
	s_wait_loadcnt_dscnt 0x1
	v_mul_f64_e32 v[16:17], v[6:7], v[10:11]
	s_delay_alu instid0(VALU_DEP_1) | instskip(SKIP_1) | instid1(VALU_DEP_1)
	v_fma_f64 v[61:62], v[4:5], v[8:9], -v[16:17]
	v_mul_f64_e32 v[4:5], v[4:5], v[10:11]
	v_fma_f64 v[63:64], v[6:7], v[8:9], v[4:5]
	s_clause 0x1
	global_load_b128 v[4:7], v[24:25], off offset:368
	global_load_b128 v[8:11], v[24:25], off offset:384
	s_wait_loadcnt_dscnt 0x100
	v_mul_f64_e32 v[16:17], v[14:15], v[6:7]
	v_mul_f64_e32 v[6:7], v[12:13], v[6:7]
	s_delay_alu instid0(VALU_DEP_2) | instskip(NEXT) | instid1(VALU_DEP_2)
	v_fma_f64 v[65:66], v[12:13], v[4:5], -v[16:17]
	v_fma_f64 v[67:68], v[14:15], v[4:5], v[6:7]
	ds_load_b128 v[4:7], v227 offset:8704
	ds_load_b128 v[12:15], v227 offset:9792
	s_wait_loadcnt_dscnt 0x1
	v_mul_f64_e32 v[16:17], v[6:7], v[10:11]
	s_delay_alu instid0(VALU_DEP_1) | instskip(SKIP_1) | instid1(VALU_DEP_1)
	v_fma_f64 v[69:70], v[4:5], v[8:9], -v[16:17]
	v_mul_f64_e32 v[4:5], v[4:5], v[10:11]
	v_fma_f64 v[81:82], v[6:7], v[8:9], v[4:5]
	s_clause 0x1
	global_load_b128 v[4:7], v[24:25], off offset:400
	global_load_b128 v[8:11], v[24:25], off offset:416
	s_wait_loadcnt_dscnt 0x100
	v_mul_f64_e32 v[16:17], v[14:15], v[6:7]
	v_mul_f64_e32 v[6:7], v[12:13], v[6:7]
	s_delay_alu instid0(VALU_DEP_2) | instskip(NEXT) | instid1(VALU_DEP_2)
	v_fma_f64 v[83:84], v[12:13], v[4:5], -v[16:17]
	v_fma_f64 v[85:86], v[14:15], v[4:5], v[6:7]
	ds_load_b128 v[4:7], v227 offset:10880
	ds_load_b128 v[12:15], v227 offset:11968
	s_wait_loadcnt_dscnt 0x1
	v_mul_f64_e32 v[16:17], v[6:7], v[10:11]
	v_add_f64_e32 v[203:204], v[69:70], v[83:84]
	v_add_f64_e64 v[211:212], v[81:82], -v[85:86]
	v_add_f64_e64 v[213:214], v[69:70], -v[83:84]
	v_add_f64_e32 v[209:210], v[81:82], v[85:86]
	v_fma_f64 v[87:88], v[4:5], v[8:9], -v[16:17]
	v_mul_f64_e32 v[4:5], v[4:5], v[10:11]
	s_delay_alu instid0(VALU_DEP_2) | instskip(NEXT) | instid1(VALU_DEP_2)
	v_add_f64_e32 v[191:192], v[65:66], v[87:88]
	v_fma_f64 v[89:90], v[6:7], v[8:9], v[4:5]
	s_clause 0x1
	global_load_b128 v[4:7], v[24:25], off offset:432
	global_load_b128 v[8:11], v[24:25], off offset:448
	v_add_f64_e64 v[201:202], v[65:66], -v[87:88]
	v_add_f64_e64 v[199:200], v[67:68], -v[89:90]
	v_add_f64_e32 v[193:194], v[67:68], v[89:90]
	s_wait_loadcnt_dscnt 0x100
	v_mul_f64_e32 v[16:17], v[14:15], v[6:7]
	v_mul_f64_e32 v[6:7], v[12:13], v[6:7]
	s_delay_alu instid0(VALU_DEP_2) | instskip(NEXT) | instid1(VALU_DEP_2)
	v_fma_f64 v[91:92], v[12:13], v[4:5], -v[16:17]
	v_fma_f64 v[93:94], v[14:15], v[4:5], v[6:7]
	ds_load_b128 v[4:7], v227 offset:13056
	ds_load_b128 v[12:15], v227 offset:14144
	s_wait_loadcnt_dscnt 0x1
	v_mul_f64_e32 v[16:17], v[6:7], v[10:11]
	v_add_f64_e32 v[183:184], v[61:62], v[91:92]
	v_add_f64_e64 v[187:188], v[63:64], -v[93:94]
	v_add_f64_e64 v[189:190], v[61:62], -v[91:92]
	v_add_f64_e32 v[185:186], v[63:64], v[93:94]
	v_fma_f64 v[95:96], v[4:5], v[8:9], -v[16:17]
	v_mul_f64_e32 v[4:5], v[4:5], v[10:11]
	v_mul_f64_e32 v[215:216], s[22:23], v[187:188]
	;; [unrolled: 1-line block ×3, first 2 shown]
	s_delay_alu instid0(VALU_DEP_4) | instskip(NEXT) | instid1(VALU_DEP_4)
	v_add_f64_e32 v[171:172], v[57:58], v[95:96]
	v_fma_f64 v[97:98], v[6:7], v[8:9], v[4:5]
	s_clause 0x1
	global_load_b128 v[4:7], v[24:25], off offset:464
	global_load_b128 v[8:11], v[24:25], off offset:480
	v_add_f64_e64 v[181:182], v[57:58], -v[95:96]
	v_add_f64_e64 v[179:180], v[59:60], -v[97:98]
	v_add_f64_e32 v[173:174], v[59:60], v[97:98]
	s_delay_alu instid0(VALU_DEP_3) | instskip(NEXT) | instid1(VALU_DEP_3)
	v_mul_f64_e32 v[207:208], s[20:21], v[181:182]
	v_mul_f64_e32 v[205:206], s[20:21], v[179:180]
	s_wait_loadcnt_dscnt 0x100
	v_mul_f64_e32 v[16:17], v[14:15], v[6:7]
	v_mul_f64_e32 v[6:7], v[12:13], v[6:7]
	s_delay_alu instid0(VALU_DEP_2) | instskip(NEXT) | instid1(VALU_DEP_2)
	v_fma_f64 v[99:100], v[12:13], v[4:5], -v[16:17]
	v_fma_f64 v[101:102], v[14:15], v[4:5], v[6:7]
	ds_load_b128 v[4:7], v227 offset:15232
	ds_load_b128 v[12:15], v227 offset:16320
	s_wait_loadcnt_dscnt 0x1
	v_mul_f64_e32 v[16:17], v[6:7], v[10:11]
	v_add_f64_e64 v[169:170], v[53:54], -v[99:100]
	s_delay_alu instid0(VALU_DEP_2) | instskip(SKIP_1) | instid1(VALU_DEP_3)
	v_fma_f64 v[103:104], v[4:5], v[8:9], -v[16:17]
	v_mul_f64_e32 v[4:5], v[4:5], v[10:11]
	v_mul_f64_e32 v[197:198], s[34:35], v[169:170]
	s_delay_alu instid0(VALU_DEP_2)
	v_fma_f64 v[105:106], v[6:7], v[8:9], v[4:5]
	s_clause 0x1
	global_load_b128 v[4:7], v[24:25], off offset:496
	global_load_b128 v[8:11], v[24:25], off offset:512
	s_wait_loadcnt_dscnt 0x100
	v_mul_f64_e32 v[16:17], v[14:15], v[6:7]
	v_mul_f64_e32 v[6:7], v[12:13], v[6:7]
	s_delay_alu instid0(VALU_DEP_2) | instskip(NEXT) | instid1(VALU_DEP_2)
	v_fma_f64 v[107:108], v[12:13], v[4:5], -v[16:17]
	v_fma_f64 v[109:110], v[14:15], v[4:5], v[6:7]
	ds_load_b128 v[4:7], v227 offset:17408
	global_wb scope:SCOPE_SE
	s_wait_loadcnt_dscnt 0x0
	s_barrier_signal -1
	s_barrier_wait -1
	global_inv scope:SCOPE_SE
	v_mul_f64_e32 v[12:13], v[4:5], v[10:11]
	s_delay_alu instid0(VALU_DEP_1) | instskip(SKIP_1) | instid1(VALU_DEP_2)
	v_fma_f64 v[111:112], v[6:7], v[8:9], v[12:13]
	v_mul_f64_e32 v[6:7], v[6:7], v[10:11]
	v_add_f64_e32 v[115:116], v[22:23], v[111:112]
	s_delay_alu instid0(VALU_DEP_2) | instskip(SKIP_1) | instid1(VALU_DEP_2)
	v_fma_f64 v[113:114], v[4:5], v[8:9], -v[6:7]
	v_add_f64_e64 v[4:5], v[22:23], -v[111:112]
	v_add_f64_e32 v[24:25], v[20:21], v[113:114]
	s_delay_alu instid0(VALU_DEP_2)
	v_mul_f64_e32 v[6:7], s[28:29], v[4:5]
	v_mul_f64_e32 v[8:9], s[36:37], v[4:5]
	;; [unrolled: 1-line block ×8, first 2 shown]
	v_fma_f64 v[26:27], v[24:25], s[16:17], -v[6:7]
	v_fma_f64 v[6:7], v[24:25], s[16:17], v[6:7]
	v_fma_f64 v[28:29], v[24:25], s[12:13], -v[8:9]
	v_fma_f64 v[32:33], v[24:25], s[2:3], -v[12:13]
	v_fma_f64 v[36:37], v[24:25], s[2:3], v[12:13]
	v_fma_f64 v[38:39], v[24:25], s[10:11], -v[14:15]
	v_fma_f64 v[40:41], v[24:25], s[10:11], v[14:15]
	;; [unrolled: 2-line block ×3, first 2 shown]
	v_add_f64_e64 v[4:5], v[20:21], -v[113:114]
	v_fma_f64 v[8:9], v[24:25], s[12:13], v[8:9]
	v_fma_f64 v[30:31], v[24:25], s[6:7], -v[10:11]
	v_fma_f64 v[10:11], v[24:25], s[6:7], v[10:11]
	v_fma_f64 v[71:72], v[24:25], s[14:15], -v[16:17]
	v_fma_f64 v[73:74], v[24:25], s[14:15], v[16:17]
	v_fma_f64 v[75:76], v[24:25], s[18:19], -v[18:19]
	v_fma_f64 v[77:78], v[24:25], s[18:19], v[18:19]
	v_add_f64_e32 v[165:166], v[119:120], v[26:27]
	v_add_f64_e32 v[6:7], v[119:120], v[6:7]
	;; [unrolled: 1-line block ×3, first 2 shown]
	v_mul_f64_e32 v[12:13], s[28:29], v[4:5]
	v_mul_f64_e32 v[14:15], s[36:37], v[4:5]
	;; [unrolled: 1-line block ×8, first 2 shown]
	v_add_f64_e32 v[26:27], v[119:120], v[30:31]
	v_add_f64_e32 v[22:23], v[119:120], v[10:11]
	v_add_f64_e32 v[30:31], v[119:120], v[36:37]
	v_add_f64_e32 v[153:154], v[119:120], v[71:72]
	v_add_f64_e32 v[149:150], v[119:120], v[73:74]
	v_fma_f64 v[127:128], v[115:116], s[16:17], v[12:13]
	v_fma_f64 v[12:13], v[115:116], s[16:17], -v[12:13]
	v_fma_f64 v[131:132], v[115:116], s[12:13], -v[14:15]
	v_fma_f64 v[129:130], v[115:116], s[12:13], v[14:15]
	v_fma_f64 v[133:134], v[115:116], s[6:7], v[16:17]
	v_fma_f64 v[135:136], v[115:116], s[6:7], -v[16:17]
	v_fma_f64 v[137:138], v[115:116], s[2:3], v[18:19]
	v_fma_f64 v[159:160], v[115:116], s[26:27], v[4:5]
	v_fma_f64 v[161:162], v[115:116], s[26:27], -v[4:5]
	v_fma_f64 v[141:142], v[115:116], s[10:11], v[24:25]
	v_fma_f64 v[143:144], v[115:116], s[10:11], -v[24:25]
	v_fma_f64 v[145:146], v[115:116], s[14:15], v[34:35]
	v_fma_f64 v[155:156], v[115:116], s[18:19], v[42:43]
	v_add_f64_e32 v[14:15], v[119:120], v[8:9]
	v_fma_f64 v[139:140], v[115:116], s[2:3], -v[18:19]
	v_fma_f64 v[147:148], v[115:116], s[14:15], -v[34:35]
	;; [unrolled: 1-line block ×3, first 2 shown]
	v_add_f64_e32 v[115:116], v[119:120], v[20:21]
	v_add_f64_e32 v[18:19], v[119:120], v[28:29]
	;; [unrolled: 1-line block ×7, first 2 shown]
	v_add_f64_e64 v[131:132], v[47:48], -v[109:110]
	v_add_f64_e32 v[16:17], v[121:122], v[129:130]
	v_add_f64_e32 v[129:130], v[119:120], v[123:124]
	v_add_f64_e32 v[123:124], v[45:46], v[107:108]
	v_add_f64_e32 v[24:25], v[121:122], v[133:134]
	v_add_f64_e64 v[133:134], v[45:46], -v[107:108]
	v_add_f64_e32 v[32:33], v[121:122], v[137:138]
	v_add_f64_e32 v[36:37], v[121:122], v[141:142]
	;; [unrolled: 1-line block ×8, first 2 shown]
	v_add_f64_e64 v[155:156], v[51:52], -v[105:106]
	v_add_f64_e32 v[20:21], v[121:122], v[135:136]
	v_add_f64_e32 v[28:29], v[121:122], v[139:140]
	;; [unrolled: 1-line block ×4, first 2 shown]
	v_add_f64_e64 v[157:158], v[49:50], -v[103:104]
	v_add_f64_e32 v[40:41], v[121:122], v[143:144]
	v_add_f64_e32 v[143:144], v[51:52], v[105:106]
	;; [unrolled: 1-line block ×9, first 2 shown]
	v_mul_f64_e32 v[163:164], s[36:37], v[131:132]
	v_mul_f64_e32 v[175:176], s[38:39], v[155:156]
	;; [unrolled: 1-line block ×3, first 2 shown]
	v_add_f64_e32 v[45:46], v[45:46], v[49:50]
	v_add_f64_e32 v[47:48], v[47:48], v[51:52]
	s_wait_alu 0xf1ff
	v_cndmask_b32_e64 v49, 0, 0x2420, s1
	s_delay_alu instid0(VALU_DEP_1) | instskip(SKIP_2) | instid1(VALU_DEP_3)
	v_add_nc_u32_e32 v49, 0, v49
	v_fma_f64 v[8:9], v[123:124], s[12:13], -v[163:164]
	v_fma_f64 v[163:164], v[123:124], s[12:13], v[163:164]
	v_add3_u32 v44, v49, v44, v221
	v_fma_f64 v[71:72], v[139:140], s[6:7], -v[175:176]
	v_add_f64_e32 v[45:46], v[45:46], v[53:54]
	v_add_f64_e32 v[47:48], v[47:48], v[55:56]
	;; [unrolled: 1-line block ×3, first 2 shown]
	v_mul_f64_e32 v[165:166], s[36:37], v[133:134]
	v_add_f64_e32 v[6:7], v[163:164], v[6:7]
	v_add_f64_e32 v[45:46], v[45:46], v[57:58]
	;; [unrolled: 1-line block ×4, first 2 shown]
	v_fma_f64 v[10:11], v[125:126], s[12:13], v[165:166]
	v_fma_f64 v[71:72], v[143:144], s[6:7], v[177:178]
	v_fma_f64 v[163:164], v[125:126], s[12:13], -v[165:166]
	v_add_f64_e32 v[45:46], v[45:46], v[61:62]
	v_add_f64_e32 v[47:48], v[47:48], v[63:64]
	;; [unrolled: 1-line block ×3, first 2 shown]
	v_add_f64_e64 v[167:168], v[55:56], -v[101:102]
	v_add_f64_e32 v[4:5], v[163:164], v[4:5]
	v_fma_f64 v[163:164], v[139:140], s[6:7], v[175:176]
	v_add_f64_e32 v[45:46], v[45:46], v[65:66]
	v_add_f64_e32 v[47:48], v[47:48], v[67:68]
	v_add_f64_e32 v[10:11], v[71:72], v[10:11]
	v_mul_f64_e32 v[195:196], s[34:35], v[167:168]
	v_add_f64_e32 v[6:7], v[163:164], v[6:7]
	v_fma_f64 v[163:164], v[143:144], s[6:7], -v[177:178]
	v_add_f64_e32 v[45:46], v[45:46], v[69:70]
	v_add_f64_e32 v[47:48], v[47:48], v[81:82]
	v_fma_f64 v[71:72], v[159:160], s[2:3], -v[195:196]
	s_delay_alu instid0(VALU_DEP_4)
	v_add_f64_e32 v[4:5], v[163:164], v[4:5]
	v_fma_f64 v[163:164], v[159:160], s[2:3], v[195:196]
	v_add_f64_e32 v[45:46], v[45:46], v[83:84]
	v_add_f64_e32 v[47:48], v[47:48], v[85:86]
	;; [unrolled: 1-line block ×3, first 2 shown]
	v_fma_f64 v[71:72], v[161:162], s[2:3], v[197:198]
	v_add_f64_e32 v[6:7], v[163:164], v[6:7]
	v_fma_f64 v[163:164], v[161:162], s[2:3], -v[197:198]
	v_add_f64_e32 v[45:46], v[45:46], v[87:88]
	v_add_f64_e32 v[47:48], v[47:48], v[89:90]
	;; [unrolled: 1-line block ×3, first 2 shown]
	v_fma_f64 v[71:72], v[171:172], s[10:11], -v[205:206]
	v_add_f64_e32 v[4:5], v[163:164], v[4:5]
	v_fma_f64 v[163:164], v[171:172], s[10:11], v[205:206]
	v_add_f64_e32 v[45:46], v[45:46], v[91:92]
	v_add_f64_e32 v[47:48], v[47:48], v[93:94]
	;; [unrolled: 1-line block ×3, first 2 shown]
	v_fma_f64 v[71:72], v[173:174], s[10:11], v[207:208]
	v_add_f64_e32 v[6:7], v[163:164], v[6:7]
	v_fma_f64 v[163:164], v[173:174], s[10:11], -v[207:208]
	v_add_f64_e32 v[45:46], v[45:46], v[95:96]
	v_add_f64_e32 v[47:48], v[47:48], v[97:98]
	;; [unrolled: 1-line block ×3, first 2 shown]
	v_fma_f64 v[71:72], v[183:184], s[14:15], -v[215:216]
	v_add_f64_e32 v[4:5], v[163:164], v[4:5]
	v_fma_f64 v[163:164], v[183:184], s[14:15], v[215:216]
	v_add_f64_e32 v[45:46], v[45:46], v[99:100]
	v_add_f64_e32 v[47:48], v[47:48], v[101:102]
	;; [unrolled: 1-line block ×3, first 2 shown]
	v_fma_f64 v[71:72], v[185:186], s[14:15], v[217:218]
	v_add_f64_e32 v[6:7], v[163:164], v[6:7]
	v_fma_f64 v[163:164], v[185:186], s[14:15], -v[217:218]
	s_wait_alu 0xfffe
	v_mul_f64_e32 v[217:218], s[42:43], v[211:212]
	v_add_f64_e32 v[45:46], v[45:46], v[103:104]
	v_add_f64_e32 v[47:48], v[47:48], v[105:106]
	;; [unrolled: 1-line block ×3, first 2 shown]
	v_mul_f64_e32 v[71:72], s[24:25], v[199:200]
	v_add_f64_e32 v[4:5], v[163:164], v[4:5]
	v_add_f64_e32 v[45:46], v[45:46], v[107:108]
	;; [unrolled: 1-line block ×3, first 2 shown]
	s_delay_alu instid0(VALU_DEP_4) | instskip(SKIP_1) | instid1(VALU_DEP_4)
	v_fma_f64 v[73:74], v[191:192], s[18:19], -v[71:72]
	v_fma_f64 v[71:72], v[191:192], s[18:19], v[71:72]
	v_add_f64_e32 v[45:46], v[45:46], v[113:114]
	s_delay_alu instid0(VALU_DEP_4) | instskip(NEXT) | instid1(VALU_DEP_4)
	v_add_f64_e32 v[47:48], v[47:48], v[111:112]
	v_add_f64_e32 v[8:9], v[73:74], v[8:9]
	v_mul_f64_e32 v[73:74], s[24:25], v[201:202]
	v_add_f64_e32 v[6:7], v[71:72], v[6:7]
	s_delay_alu instid0(VALU_DEP_2) | instskip(SKIP_1) | instid1(VALU_DEP_2)
	v_fma_f64 v[75:76], v[193:194], s[18:19], v[73:74]
	v_fma_f64 v[71:72], v[193:194], s[18:19], -v[73:74]
	v_add_f64_e32 v[10:11], v[75:76], v[10:11]
	v_mul_f64_e32 v[75:76], s[30:31], v[211:212]
	s_delay_alu instid0(VALU_DEP_3) | instskip(NEXT) | instid1(VALU_DEP_2)
	v_add_f64_e32 v[71:72], v[71:72], v[4:5]
	v_fma_f64 v[77:78], v[203:204], s[26:27], -v[75:76]
	v_fma_f64 v[4:5], v[203:204], s[26:27], v[75:76]
	s_delay_alu instid0(VALU_DEP_2) | instskip(SKIP_1) | instid1(VALU_DEP_3)
	v_add_f64_e32 v[8:9], v[77:78], v[8:9]
	v_mul_f64_e32 v[77:78], s[30:31], v[213:214]
	v_add_f64_e32 v[4:5], v[4:5], v[6:7]
	s_delay_alu instid0(VALU_DEP_2) | instskip(SKIP_1) | instid1(VALU_DEP_2)
	v_fma_f64 v[73:74], v[209:210], s[26:27], -v[77:78]
	v_fma_f64 v[219:220], v[209:210], s[26:27], v[77:78]
	v_add_f64_e32 v[6:7], v[73:74], v[71:72]
	v_mul_f64_e32 v[71:72], s[34:35], v[131:132]
	s_delay_alu instid0(VALU_DEP_3) | instskip(SKIP_1) | instid1(VALU_DEP_3)
	v_add_f64_e32 v[10:11], v[219:220], v[10:11]
	v_mul_f64_e32 v[219:220], s[42:43], v[213:214]
	v_fma_f64 v[73:74], v[123:124], s[2:3], -v[71:72]
	v_fma_f64 v[71:72], v[123:124], s[2:3], v[71:72]
	s_delay_alu instid0(VALU_DEP_2) | instskip(SKIP_1) | instid1(VALU_DEP_3)
	v_add_f64_e32 v[18:19], v[73:74], v[18:19]
	v_mul_f64_e32 v[73:74], s[34:35], v[133:134]
	v_add_f64_e32 v[14:15], v[71:72], v[14:15]
	s_delay_alu instid0(VALU_DEP_2) | instskip(SKIP_2) | instid1(VALU_DEP_3)
	v_fma_f64 v[75:76], v[125:126], s[2:3], v[73:74]
	v_fma_f64 v[71:72], v[125:126], s[2:3], -v[73:74]
	v_fma_f64 v[73:74], v[209:210], s[16:17], -v[219:220]
	v_add_f64_e32 v[16:17], v[75:76], v[16:17]
	v_mul_f64_e32 v[75:76], s[22:23], v[155:156]
	s_delay_alu instid0(VALU_DEP_4) | instskip(NEXT) | instid1(VALU_DEP_2)
	v_add_f64_e32 v[12:13], v[71:72], v[12:13]
	v_fma_f64 v[77:78], v[139:140], s[14:15], -v[75:76]
	v_fma_f64 v[71:72], v[139:140], s[14:15], v[75:76]
	s_delay_alu instid0(VALU_DEP_2) | instskip(SKIP_1) | instid1(VALU_DEP_3)
	v_add_f64_e32 v[18:19], v[77:78], v[18:19]
	v_mul_f64_e32 v[77:78], s[22:23], v[157:158]
	v_add_f64_e32 v[14:15], v[71:72], v[14:15]
	s_delay_alu instid0(VALU_DEP_2) | instskip(SKIP_1) | instid1(VALU_DEP_2)
	v_fma_f64 v[163:164], v[143:144], s[14:15], v[77:78]
	v_fma_f64 v[71:72], v[143:144], s[14:15], -v[77:78]
	v_add_f64_e32 v[16:17], v[163:164], v[16:17]
	v_mul_f64_e32 v[163:164], s[30:31], v[167:168]
	s_delay_alu instid0(VALU_DEP_3) | instskip(NEXT) | instid1(VALU_DEP_2)
	v_add_f64_e32 v[12:13], v[71:72], v[12:13]
	v_fma_f64 v[165:166], v[159:160], s[26:27], -v[163:164]
	v_fma_f64 v[71:72], v[159:160], s[26:27], v[163:164]
	s_delay_alu instid0(VALU_DEP_2) | instskip(SKIP_1) | instid1(VALU_DEP_3)
	v_add_f64_e32 v[18:19], v[165:166], v[18:19]
	v_mul_f64_e32 v[165:166], s[30:31], v[169:170]
	v_add_f64_e32 v[14:15], v[71:72], v[14:15]
	s_delay_alu instid0(VALU_DEP_2) | instskip(SKIP_1) | instid1(VALU_DEP_2)
	v_fma_f64 v[175:176], v[161:162], s[26:27], v[165:166]
	v_fma_f64 v[71:72], v[161:162], s[26:27], -v[165:166]
	v_add_f64_e32 v[16:17], v[175:176], v[16:17]
	v_mul_f64_e32 v[175:176], s[48:49], v[179:180]
	s_delay_alu instid0(VALU_DEP_3) | instskip(NEXT) | instid1(VALU_DEP_2)
	;; [unrolled: 13-line block ×4, first 2 shown]
	v_add_f64_e32 v[12:13], v[71:72], v[12:13]
	v_fma_f64 v[207:208], v[191:192], s[6:7], -v[205:206]
	v_fma_f64 v[71:72], v[191:192], s[6:7], v[205:206]
	s_delay_alu instid0(VALU_DEP_2) | instskip(SKIP_1) | instid1(VALU_DEP_3)
	v_add_f64_e32 v[18:19], v[207:208], v[18:19]
	v_mul_f64_e32 v[207:208], s[40:41], v[201:202]
	v_add_f64_e32 v[14:15], v[71:72], v[14:15]
	s_delay_alu instid0(VALU_DEP_2) | instskip(SKIP_1) | instid1(VALU_DEP_2)
	v_fma_f64 v[71:72], v[193:194], s[6:7], -v[207:208]
	v_fma_f64 v[215:216], v[193:194], s[6:7], v[207:208]
	v_add_f64_e32 v[71:72], v[71:72], v[12:13]
	v_fma_f64 v[12:13], v[203:204], s[16:17], v[217:218]
	s_delay_alu instid0(VALU_DEP_3) | instskip(SKIP_2) | instid1(VALU_DEP_4)
	v_add_f64_e32 v[215:216], v[215:216], v[16:17]
	v_fma_f64 v[16:17], v[203:204], s[16:17], -v[217:218]
	v_mul_f64_e32 v[217:218], s[24:25], v[211:212]
	v_add_f64_e32 v[12:13], v[12:13], v[14:15]
	v_add_f64_e32 v[14:15], v[73:74], v[71:72]
	v_mul_f64_e32 v[71:72], s[22:23], v[131:132]
	v_add_f64_e32 v[16:17], v[16:17], v[18:19]
	v_fma_f64 v[18:19], v[209:210], s[16:17], v[219:220]
	v_mul_f64_e32 v[219:220], s[24:25], v[213:214]
	s_delay_alu instid0(VALU_DEP_4) | instskip(SKIP_1) | instid1(VALU_DEP_4)
	v_fma_f64 v[73:74], v[123:124], s[14:15], -v[71:72]
	v_fma_f64 v[71:72], v[123:124], s[14:15], v[71:72]
	v_add_f64_e32 v[18:19], v[18:19], v[215:216]
	s_delay_alu instid0(VALU_DEP_3) | instskip(SKIP_1) | instid1(VALU_DEP_4)
	v_add_f64_e32 v[26:27], v[73:74], v[26:27]
	v_mul_f64_e32 v[73:74], s[22:23], v[133:134]
	v_add_f64_e32 v[22:23], v[71:72], v[22:23]
	s_delay_alu instid0(VALU_DEP_2) | instskip(SKIP_2) | instid1(VALU_DEP_3)
	v_fma_f64 v[75:76], v[125:126], s[14:15], v[73:74]
	v_fma_f64 v[71:72], v[125:126], s[14:15], -v[73:74]
	v_fma_f64 v[73:74], v[209:210], s[18:19], -v[219:220]
	v_add_f64_e32 v[24:25], v[75:76], v[24:25]
	v_mul_f64_e32 v[75:76], s[44:45], v[155:156]
	s_delay_alu instid0(VALU_DEP_4) | instskip(NEXT) | instid1(VALU_DEP_2)
	v_add_f64_e32 v[20:21], v[71:72], v[20:21]
	v_fma_f64 v[77:78], v[139:140], s[26:27], -v[75:76]
	v_fma_f64 v[71:72], v[139:140], s[26:27], v[75:76]
	s_delay_alu instid0(VALU_DEP_2) | instskip(SKIP_3) | instid1(VALU_DEP_3)
	v_add_f64_e32 v[26:27], v[77:78], v[26:27]
	v_mul_f64_e32 v[77:78], s[44:45], v[157:158]
	s_mov_b32 s45, 0x3fe58eea
	s_mov_b32 s44, s36
	v_add_f64_e32 v[22:23], v[71:72], v[22:23]
	s_delay_alu instid0(VALU_DEP_2) | instskip(SKIP_1) | instid1(VALU_DEP_2)
	v_fma_f64 v[163:164], v[143:144], s[26:27], v[77:78]
	v_fma_f64 v[71:72], v[143:144], s[26:27], -v[77:78]
	v_add_f64_e32 v[24:25], v[163:164], v[24:25]
	v_mul_f64_e32 v[163:164], s[46:47], v[167:168]
	s_delay_alu instid0(VALU_DEP_3) | instskip(NEXT) | instid1(VALU_DEP_2)
	v_add_f64_e32 v[20:21], v[71:72], v[20:21]
	v_fma_f64 v[165:166], v[159:160], s[10:11], -v[163:164]
	v_fma_f64 v[71:72], v[159:160], s[10:11], v[163:164]
	s_delay_alu instid0(VALU_DEP_2) | instskip(SKIP_1) | instid1(VALU_DEP_3)
	v_add_f64_e32 v[26:27], v[165:166], v[26:27]
	v_mul_f64_e32 v[165:166], s[46:47], v[169:170]
	v_add_f64_e32 v[22:23], v[71:72], v[22:23]
	s_delay_alu instid0(VALU_DEP_2) | instskip(SKIP_1) | instid1(VALU_DEP_2)
	v_fma_f64 v[175:176], v[161:162], s[10:11], v[165:166]
	v_fma_f64 v[71:72], v[161:162], s[10:11], -v[165:166]
	v_add_f64_e32 v[24:25], v[175:176], v[24:25]
	s_wait_alu 0xfffe
	v_mul_f64_e32 v[175:176], s[44:45], v[179:180]
	s_delay_alu instid0(VALU_DEP_3) | instskip(NEXT) | instid1(VALU_DEP_2)
	v_add_f64_e32 v[20:21], v[71:72], v[20:21]
	v_fma_f64 v[177:178], v[171:172], s[12:13], -v[175:176]
	v_fma_f64 v[71:72], v[171:172], s[12:13], v[175:176]
	s_delay_alu instid0(VALU_DEP_2) | instskip(SKIP_1) | instid1(VALU_DEP_3)
	v_add_f64_e32 v[26:27], v[177:178], v[26:27]
	v_mul_f64_e32 v[177:178], s[44:45], v[181:182]
	v_add_f64_e32 v[22:23], v[71:72], v[22:23]
	s_delay_alu instid0(VALU_DEP_2) | instskip(SKIP_1) | instid1(VALU_DEP_2)
	v_fma_f64 v[195:196], v[173:174], s[12:13], v[177:178]
	v_fma_f64 v[71:72], v[173:174], s[12:13], -v[177:178]
	v_add_f64_e32 v[24:25], v[195:196], v[24:25]
	v_mul_f64_e32 v[195:196], s[28:29], v[187:188]
	s_delay_alu instid0(VALU_DEP_3) | instskip(NEXT) | instid1(VALU_DEP_2)
	v_add_f64_e32 v[20:21], v[71:72], v[20:21]
	v_fma_f64 v[197:198], v[183:184], s[16:17], -v[195:196]
	v_fma_f64 v[71:72], v[183:184], s[16:17], v[195:196]
	s_delay_alu instid0(VALU_DEP_2) | instskip(SKIP_1) | instid1(VALU_DEP_3)
	v_add_f64_e32 v[26:27], v[197:198], v[26:27]
	v_mul_f64_e32 v[197:198], s[28:29], v[189:190]
	v_add_f64_e32 v[22:23], v[71:72], v[22:23]
	s_delay_alu instid0(VALU_DEP_2) | instskip(SKIP_1) | instid1(VALU_DEP_2)
	v_fma_f64 v[205:206], v[185:186], s[16:17], v[197:198]
	v_fma_f64 v[71:72], v[185:186], s[16:17], -v[197:198]
	v_add_f64_e32 v[24:25], v[205:206], v[24:25]
	v_mul_f64_e32 v[205:206], s[34:35], v[199:200]
	s_delay_alu instid0(VALU_DEP_3) | instskip(NEXT) | instid1(VALU_DEP_2)
	v_add_f64_e32 v[20:21], v[71:72], v[20:21]
	v_fma_f64 v[207:208], v[191:192], s[2:3], -v[205:206]
	v_fma_f64 v[71:72], v[191:192], s[2:3], v[205:206]
	s_delay_alu instid0(VALU_DEP_2) | instskip(SKIP_1) | instid1(VALU_DEP_3)
	v_add_f64_e32 v[26:27], v[207:208], v[26:27]
	v_mul_f64_e32 v[207:208], s[34:35], v[201:202]
	v_add_f64_e32 v[22:23], v[71:72], v[22:23]
	s_delay_alu instid0(VALU_DEP_2) | instskip(SKIP_1) | instid1(VALU_DEP_2)
	v_fma_f64 v[71:72], v[193:194], s[2:3], -v[207:208]
	v_fma_f64 v[215:216], v[193:194], s[2:3], v[207:208]
	v_add_f64_e32 v[71:72], v[71:72], v[20:21]
	v_fma_f64 v[20:21], v[203:204], s[18:19], v[217:218]
	s_delay_alu instid0(VALU_DEP_3) | instskip(SKIP_2) | instid1(VALU_DEP_4)
	v_add_f64_e32 v[215:216], v[215:216], v[24:25]
	v_fma_f64 v[24:25], v[203:204], s[18:19], -v[217:218]
	v_mul_f64_e32 v[217:218], s[44:45], v[211:212]
	v_add_f64_e32 v[20:21], v[20:21], v[22:23]
	v_add_f64_e32 v[22:23], v[73:74], v[71:72]
	v_mul_f64_e32 v[71:72], s[30:31], v[131:132]
	v_add_f64_e32 v[24:25], v[24:25], v[26:27]
	v_fma_f64 v[26:27], v[209:210], s[18:19], v[219:220]
	v_mul_f64_e32 v[219:220], s[44:45], v[213:214]
	s_delay_alu instid0(VALU_DEP_4) | instskip(SKIP_1) | instid1(VALU_DEP_4)
	v_fma_f64 v[73:74], v[123:124], s[26:27], -v[71:72]
	v_fma_f64 v[71:72], v[123:124], s[26:27], v[71:72]
	v_add_f64_e32 v[26:27], v[26:27], v[215:216]
	s_delay_alu instid0(VALU_DEP_3) | instskip(SKIP_1) | instid1(VALU_DEP_4)
	v_add_f64_e32 v[34:35], v[73:74], v[34:35]
	v_mul_f64_e32 v[73:74], s[30:31], v[133:134]
	v_add_f64_e32 v[30:31], v[71:72], v[30:31]
	s_delay_alu instid0(VALU_DEP_2) | instskip(SKIP_2) | instid1(VALU_DEP_3)
	v_fma_f64 v[75:76], v[125:126], s[26:27], v[73:74]
	v_fma_f64 v[71:72], v[125:126], s[26:27], -v[73:74]
	v_fma_f64 v[73:74], v[209:210], s[12:13], -v[219:220]
	v_add_f64_e32 v[32:33], v[75:76], v[32:33]
	v_mul_f64_e32 v[75:76], s[46:47], v[155:156]
	s_delay_alu instid0(VALU_DEP_4) | instskip(NEXT) | instid1(VALU_DEP_2)
	v_add_f64_e32 v[28:29], v[71:72], v[28:29]
	v_fma_f64 v[77:78], v[139:140], s[10:11], -v[75:76]
	v_fma_f64 v[71:72], v[139:140], s[10:11], v[75:76]
	s_delay_alu instid0(VALU_DEP_2) | instskip(SKIP_1) | instid1(VALU_DEP_3)
	v_add_f64_e32 v[34:35], v[77:78], v[34:35]
	v_mul_f64_e32 v[77:78], s[46:47], v[157:158]
	v_add_f64_e32 v[30:31], v[71:72], v[30:31]
	s_delay_alu instid0(VALU_DEP_2) | instskip(SKIP_1) | instid1(VALU_DEP_2)
	v_fma_f64 v[163:164], v[143:144], s[10:11], v[77:78]
	v_fma_f64 v[71:72], v[143:144], s[10:11], -v[77:78]
	v_add_f64_e32 v[32:33], v[163:164], v[32:33]
	v_mul_f64_e32 v[163:164], s[42:43], v[167:168]
	s_delay_alu instid0(VALU_DEP_3) | instskip(NEXT) | instid1(VALU_DEP_2)
	v_add_f64_e32 v[28:29], v[71:72], v[28:29]
	v_fma_f64 v[165:166], v[159:160], s[16:17], -v[163:164]
	v_fma_f64 v[71:72], v[159:160], s[16:17], v[163:164]
	s_delay_alu instid0(VALU_DEP_2) | instskip(SKIP_1) | instid1(VALU_DEP_3)
	v_add_f64_e32 v[34:35], v[165:166], v[34:35]
	v_mul_f64_e32 v[165:166], s[42:43], v[169:170]
	v_add_f64_e32 v[30:31], v[71:72], v[30:31]
	s_delay_alu instid0(VALU_DEP_2) | instskip(SKIP_1) | instid1(VALU_DEP_2)
	v_fma_f64 v[175:176], v[161:162], s[16:17], v[165:166]
	v_fma_f64 v[71:72], v[161:162], s[16:17], -v[165:166]
	v_add_f64_e32 v[32:33], v[175:176], v[32:33]
	v_mul_f64_e32 v[175:176], s[38:39], v[179:180]
	s_delay_alu instid0(VALU_DEP_3) | instskip(NEXT) | instid1(VALU_DEP_2)
	;; [unrolled: 13-line block ×4, first 2 shown]
	v_add_f64_e32 v[28:29], v[71:72], v[28:29]
	v_fma_f64 v[207:208], v[191:192], s[14:15], -v[205:206]
	v_fma_f64 v[71:72], v[191:192], s[14:15], v[205:206]
	s_delay_alu instid0(VALU_DEP_2) | instskip(SKIP_1) | instid1(VALU_DEP_3)
	v_add_f64_e32 v[34:35], v[207:208], v[34:35]
	v_mul_f64_e32 v[207:208], s[50:51], v[201:202]
	v_add_f64_e32 v[30:31], v[71:72], v[30:31]
	s_delay_alu instid0(VALU_DEP_2) | instskip(SKIP_1) | instid1(VALU_DEP_2)
	v_fma_f64 v[71:72], v[193:194], s[14:15], -v[207:208]
	v_fma_f64 v[215:216], v[193:194], s[14:15], v[207:208]
	v_add_f64_e32 v[71:72], v[71:72], v[28:29]
	v_fma_f64 v[28:29], v[203:204], s[12:13], v[217:218]
	s_delay_alu instid0(VALU_DEP_3) | instskip(SKIP_2) | instid1(VALU_DEP_4)
	v_add_f64_e32 v[215:216], v[215:216], v[32:33]
	v_fma_f64 v[32:33], v[203:204], s[12:13], -v[217:218]
	v_mul_f64_e32 v[217:218], s[22:23], v[211:212]
	v_add_f64_e32 v[28:29], v[28:29], v[30:31]
	v_add_f64_e32 v[30:31], v[73:74], v[71:72]
	v_mul_f64_e32 v[71:72], s[48:49], v[131:132]
	v_add_f64_e32 v[32:33], v[32:33], v[34:35]
	v_fma_f64 v[34:35], v[209:210], s[12:13], v[219:220]
	v_mul_f64_e32 v[219:220], s[22:23], v[213:214]
	s_delay_alu instid0(VALU_DEP_4) | instskip(SKIP_1) | instid1(VALU_DEP_4)
	v_fma_f64 v[73:74], v[123:124], s[18:19], -v[71:72]
	v_fma_f64 v[71:72], v[123:124], s[18:19], v[71:72]
	v_add_f64_e32 v[34:35], v[34:35], v[215:216]
	s_delay_alu instid0(VALU_DEP_3) | instskip(SKIP_1) | instid1(VALU_DEP_4)
	v_add_f64_e32 v[38:39], v[73:74], v[38:39]
	v_mul_f64_e32 v[73:74], s[48:49], v[133:134]
	v_add_f64_e32 v[42:43], v[71:72], v[42:43]
	s_delay_alu instid0(VALU_DEP_2) | instskip(SKIP_2) | instid1(VALU_DEP_3)
	v_fma_f64 v[75:76], v[125:126], s[18:19], v[73:74]
	v_fma_f64 v[71:72], v[125:126], s[18:19], -v[73:74]
	v_fma_f64 v[73:74], v[209:210], s[14:15], -v[219:220]
	v_add_f64_e32 v[36:37], v[75:76], v[36:37]
	v_mul_f64_e32 v[75:76], s[44:45], v[155:156]
	s_delay_alu instid0(VALU_DEP_4) | instskip(NEXT) | instid1(VALU_DEP_2)
	v_add_f64_e32 v[40:41], v[71:72], v[40:41]
	v_fma_f64 v[77:78], v[139:140], s[12:13], -v[75:76]
	v_fma_f64 v[71:72], v[139:140], s[12:13], v[75:76]
	v_mul_f64_e32 v[75:76], s[46:47], v[133:134]
	s_delay_alu instid0(VALU_DEP_3) | instskip(SKIP_1) | instid1(VALU_DEP_4)
	v_add_f64_e32 v[38:39], v[77:78], v[38:39]
	v_mul_f64_e32 v[77:78], s[44:45], v[157:158]
	v_add_f64_e32 v[42:43], v[71:72], v[42:43]
	s_delay_alu instid0(VALU_DEP_2) | instskip(SKIP_3) | instid1(VALU_DEP_4)
	v_fma_f64 v[163:164], v[143:144], s[12:13], v[77:78]
	v_fma_f64 v[71:72], v[143:144], s[12:13], -v[77:78]
	v_fma_f64 v[77:78], v[125:126], s[10:11], v[75:76]
	v_fma_f64 v[75:76], v[125:126], s[10:11], -v[75:76]
	v_add_f64_e32 v[36:37], v[163:164], v[36:37]
	v_mul_f64_e32 v[163:164], s[38:39], v[167:168]
	v_add_f64_e32 v[40:41], v[71:72], v[40:41]
	v_add_f64_e32 v[77:78], v[77:78], v[151:152]
	;; [unrolled: 1-line block ×3, first 2 shown]
	s_delay_alu instid0(VALU_DEP_4) | instskip(SKIP_2) | instid1(VALU_DEP_3)
	v_fma_f64 v[165:166], v[159:160], s[6:7], -v[163:164]
	v_fma_f64 v[71:72], v[159:160], s[6:7], v[163:164]
	v_mul_f64_e32 v[163:164], s[28:29], v[155:156]
	v_add_f64_e32 v[38:39], v[165:166], v[38:39]
	v_mul_f64_e32 v[165:166], s[38:39], v[169:170]
	s_mov_b32 s39, 0x3fefdd0d
	s_mov_b32 s38, s34
	s_delay_alu instid0(VALU_DEP_4) | instskip(NEXT) | instid1(VALU_DEP_4)
	v_add_f64_e32 v[42:43], v[71:72], v[42:43]
	v_fma_f64 v[151:152], v[139:140], s[16:17], -v[163:164]
	s_delay_alu instid0(VALU_DEP_3) | instskip(SKIP_2) | instid1(VALU_DEP_3)
	v_fma_f64 v[175:176], v[161:162], s[6:7], v[165:166]
	v_fma_f64 v[71:72], v[161:162], s[6:7], -v[165:166]
	v_mul_f64_e32 v[165:166], s[28:29], v[157:158]
	v_add_f64_e32 v[36:37], v[175:176], v[36:37]
	v_mul_f64_e32 v[175:176], s[30:31], v[179:180]
	s_delay_alu instid0(VALU_DEP_4) | instskip(NEXT) | instid1(VALU_DEP_2)
	v_add_f64_e32 v[40:41], v[71:72], v[40:41]
	v_fma_f64 v[177:178], v[171:172], s[26:27], -v[175:176]
	v_fma_f64 v[71:72], v[171:172], s[26:27], v[175:176]
	v_mul_f64_e32 v[175:176], s[24:25], v[167:168]
	s_delay_alu instid0(VALU_DEP_3) | instskip(SKIP_1) | instid1(VALU_DEP_4)
	v_add_f64_e32 v[38:39], v[177:178], v[38:39]
	v_mul_f64_e32 v[177:178], s[30:31], v[181:182]
	v_add_f64_e32 v[42:43], v[71:72], v[42:43]
	s_delay_alu instid0(VALU_DEP_2) | instskip(SKIP_2) | instid1(VALU_DEP_3)
	v_fma_f64 v[195:196], v[173:174], s[26:27], v[177:178]
	v_fma_f64 v[71:72], v[173:174], s[26:27], -v[177:178]
	v_mul_f64_e32 v[177:178], s[24:25], v[169:170]
	v_add_f64_e32 v[36:37], v[195:196], v[36:37]
	s_wait_alu 0xfffe
	v_mul_f64_e32 v[195:196], s[38:39], v[187:188]
	s_delay_alu instid0(VALU_DEP_4) | instskip(NEXT) | instid1(VALU_DEP_2)
	v_add_f64_e32 v[40:41], v[71:72], v[40:41]
	v_fma_f64 v[197:198], v[183:184], s[2:3], -v[195:196]
	v_fma_f64 v[71:72], v[183:184], s[2:3], v[195:196]
	v_mul_f64_e32 v[195:196], s[38:39], v[179:180]
	s_delay_alu instid0(VALU_DEP_3) | instskip(SKIP_1) | instid1(VALU_DEP_4)
	v_add_f64_e32 v[38:39], v[197:198], v[38:39]
	v_mul_f64_e32 v[197:198], s[38:39], v[189:190]
	v_add_f64_e32 v[42:43], v[71:72], v[42:43]
	s_delay_alu instid0(VALU_DEP_2) | instskip(SKIP_2) | instid1(VALU_DEP_3)
	v_fma_f64 v[205:206], v[185:186], s[2:3], v[197:198]
	v_fma_f64 v[71:72], v[185:186], s[2:3], -v[197:198]
	v_mul_f64_e32 v[197:198], s[38:39], v[181:182]
	v_add_f64_e32 v[36:37], v[205:206], v[36:37]
	v_mul_f64_e32 v[205:206], s[28:29], v[199:200]
	s_delay_alu instid0(VALU_DEP_4) | instskip(NEXT) | instid1(VALU_DEP_2)
	v_add_f64_e32 v[40:41], v[71:72], v[40:41]
	v_fma_f64 v[207:208], v[191:192], s[16:17], -v[205:206]
	v_fma_f64 v[71:72], v[191:192], s[16:17], v[205:206]
	v_mul_f64_e32 v[205:206], s[36:37], v[187:188]
	s_delay_alu instid0(VALU_DEP_3) | instskip(SKIP_1) | instid1(VALU_DEP_4)
	v_add_f64_e32 v[38:39], v[207:208], v[38:39]
	v_mul_f64_e32 v[207:208], s[28:29], v[201:202]
	v_add_f64_e32 v[42:43], v[71:72], v[42:43]
	s_delay_alu instid0(VALU_DEP_2) | instskip(SKIP_2) | instid1(VALU_DEP_3)
	v_fma_f64 v[71:72], v[193:194], s[16:17], -v[207:208]
	v_fma_f64 v[215:216], v[193:194], s[16:17], v[207:208]
	v_mul_f64_e32 v[207:208], s[36:37], v[189:190]
	v_add_f64_e32 v[71:72], v[71:72], v[40:41]
	v_fma_f64 v[40:41], v[203:204], s[14:15], v[217:218]
	s_delay_alu instid0(VALU_DEP_4) | instskip(SKIP_2) | instid1(VALU_DEP_4)
	v_add_f64_e32 v[215:216], v[215:216], v[36:37]
	v_fma_f64 v[36:37], v[203:204], s[14:15], -v[217:218]
	v_mul_f64_e32 v[217:218], s[30:31], v[201:202]
	v_add_f64_e32 v[40:41], v[40:41], v[42:43]
	v_add_f64_e32 v[42:43], v[73:74], v[71:72]
	v_mul_f64_e32 v[71:72], s[46:47], v[131:132]
	v_add_f64_e32 v[36:37], v[36:37], v[38:39]
	v_fma_f64 v[38:39], v[209:210], s[14:15], v[219:220]
	v_mul_f64_e32 v[219:220], s[40:41], v[211:212]
	s_delay_alu instid0(VALU_DEP_4) | instskip(SKIP_1) | instid1(VALU_DEP_4)
	v_fma_f64 v[73:74], v[123:124], s[10:11], -v[71:72]
	v_fma_f64 v[71:72], v[123:124], s[10:11], v[71:72]
	v_add_f64_e32 v[38:39], v[38:39], v[215:216]
	v_mul_f64_e32 v[215:216], s[30:31], v[199:200]
	s_delay_alu instid0(VALU_DEP_4) | instskip(NEXT) | instid1(VALU_DEP_4)
	v_add_f64_e32 v[73:74], v[73:74], v[153:154]
	v_add_f64_e32 v[71:72], v[71:72], v[149:150]
	s_delay_alu instid0(VALU_DEP_2) | instskip(SKIP_1) | instid1(VALU_DEP_1)
	v_add_f64_e32 v[73:74], v[151:152], v[73:74]
	v_fma_f64 v[151:152], v[143:144], s[16:17], v[165:166]
	v_add_f64_e32 v[77:78], v[151:152], v[77:78]
	v_fma_f64 v[151:152], v[159:160], s[18:19], -v[175:176]
	s_delay_alu instid0(VALU_DEP_1) | instskip(SKIP_1) | instid1(VALU_DEP_1)
	v_add_f64_e32 v[73:74], v[151:152], v[73:74]
	v_fma_f64 v[151:152], v[161:162], s[18:19], v[177:178]
	v_add_f64_e32 v[77:78], v[151:152], v[77:78]
	v_fma_f64 v[151:152], v[171:172], s[2:3], -v[195:196]
	s_delay_alu instid0(VALU_DEP_1) | instskip(SKIP_1) | instid1(VALU_DEP_1)
	;; [unrolled: 5-line block ×5, first 2 shown]
	v_add_f64_e32 v[151:152], v[151:152], v[73:74]
	v_mul_f64_e32 v[73:74], s[40:41], v[213:214]
	v_fma_f64 v[153:154], v[209:210], s[6:7], v[73:74]
	v_fma_f64 v[73:74], v[209:210], s[6:7], -v[73:74]
	s_delay_alu instid0(VALU_DEP_2) | instskip(SKIP_1) | instid1(VALU_DEP_1)
	v_add_f64_e32 v[153:154], v[153:154], v[77:78]
	v_fma_f64 v[77:78], v[139:140], s[16:17], v[163:164]
	v_add_f64_e32 v[71:72], v[77:78], v[71:72]
	v_fma_f64 v[77:78], v[143:144], s[16:17], -v[165:166]
	s_delay_alu instid0(VALU_DEP_1) | instskip(SKIP_2) | instid1(VALU_DEP_2)
	v_add_f64_e32 v[75:76], v[77:78], v[75:76]
	v_fma_f64 v[77:78], v[159:160], s[18:19], v[175:176]
	v_mul_f64_e32 v[175:176], s[50:51], v[167:168]
	v_add_f64_e32 v[71:72], v[77:78], v[71:72]
	v_fma_f64 v[77:78], v[161:162], s[18:19], -v[177:178]
	v_mul_f64_e32 v[177:178], s[50:51], v[169:170]
	s_delay_alu instid0(VALU_DEP_2) | instskip(SKIP_2) | instid1(VALU_DEP_2)
	v_add_f64_e32 v[75:76], v[77:78], v[75:76]
	v_fma_f64 v[77:78], v[171:172], s[2:3], v[195:196]
	v_mul_f64_e32 v[195:196], s[28:29], v[179:180]
	v_add_f64_e32 v[71:72], v[77:78], v[71:72]
	v_fma_f64 v[77:78], v[173:174], s[2:3], -v[197:198]
	v_mul_f64_e32 v[197:198], s[28:29], v[181:182]
	s_delay_alu instid0(VALU_DEP_2) | instskip(SKIP_2) | instid1(VALU_DEP_2)
	;; [unrolled: 7-line block ×3, first 2 shown]
	v_add_f64_e32 v[75:76], v[77:78], v[75:76]
	v_fma_f64 v[77:78], v[191:192], s[26:27], v[215:216]
	v_mul_f64_e32 v[215:216], s[44:45], v[199:200]
	v_add_f64_e32 v[71:72], v[77:78], v[71:72]
	v_fma_f64 v[77:78], v[193:194], s[26:27], -v[217:218]
	v_mul_f64_e32 v[217:218], s[44:45], v[201:202]
	s_delay_alu instid0(VALU_DEP_2) | instskip(SKIP_2) | instid1(VALU_DEP_3)
	v_add_f64_e32 v[75:76], v[77:78], v[75:76]
	v_fma_f64 v[77:78], v[203:204], s[6:7], v[219:220]
	v_mul_f64_e32 v[219:220], s[20:21], v[211:212]
	v_add_f64_e32 v[149:150], v[73:74], v[75:76]
	v_mul_f64_e32 v[75:76], s[40:41], v[133:134]
	s_delay_alu instid0(VALU_DEP_4) | instskip(SKIP_1) | instid1(VALU_DEP_3)
	v_add_f64_e32 v[147:148], v[77:78], v[71:72]
	v_mul_f64_e32 v[71:72], s[40:41], v[131:132]
	v_fma_f64 v[77:78], v[125:126], s[6:7], v[75:76]
	v_fma_f64 v[75:76], v[125:126], s[6:7], -v[75:76]
	s_delay_alu instid0(VALU_DEP_3) | instskip(SKIP_1) | instid1(VALU_DEP_4)
	v_fma_f64 v[73:74], v[123:124], s[6:7], -v[71:72]
	v_fma_f64 v[71:72], v[123:124], s[6:7], v[71:72]
	v_add_f64_e32 v[77:78], v[77:78], v[141:142]
	v_mul_f64_e32 v[141:142], s[34:35], v[155:156]
	s_delay_alu instid0(VALU_DEP_4) | instskip(NEXT) | instid1(VALU_DEP_4)
	v_add_f64_e32 v[73:74], v[73:74], v[145:146]
	v_add_f64_e32 v[71:72], v[71:72], v[137:138]
	;; [unrolled: 1-line block ×3, first 2 shown]
	s_delay_alu instid0(VALU_DEP_4) | instskip(NEXT) | instid1(VALU_DEP_1)
	v_fma_f64 v[145:146], v[139:140], s[2:3], -v[141:142]
	v_add_f64_e32 v[73:74], v[145:146], v[73:74]
	v_mul_f64_e32 v[145:146], s[34:35], v[157:158]
	s_delay_alu instid0(VALU_DEP_1) | instskip(NEXT) | instid1(VALU_DEP_1)
	v_fma_f64 v[163:164], v[143:144], s[2:3], v[145:146]
	v_add_f64_e32 v[77:78], v[163:164], v[77:78]
	v_fma_f64 v[163:164], v[159:160], s[14:15], -v[175:176]
	s_delay_alu instid0(VALU_DEP_1) | instskip(SKIP_1) | instid1(VALU_DEP_1)
	v_add_f64_e32 v[73:74], v[163:164], v[73:74]
	v_fma_f64 v[163:164], v[161:162], s[14:15], v[177:178]
	v_add_f64_e32 v[77:78], v[163:164], v[77:78]
	v_fma_f64 v[163:164], v[171:172], s[16:17], -v[195:196]
	s_delay_alu instid0(VALU_DEP_1) | instskip(SKIP_1) | instid1(VALU_DEP_1)
	v_add_f64_e32 v[73:74], v[163:164], v[73:74]
	;; [unrolled: 5-line block ×5, first 2 shown]
	v_mul_f64_e32 v[73:74], s[20:21], v[213:214]
	v_fma_f64 v[165:166], v[209:210], s[10:11], v[73:74]
	v_fma_f64 v[73:74], v[209:210], s[10:11], -v[73:74]
	s_delay_alu instid0(VALU_DEP_2) | instskip(SKIP_3) | instid1(VALU_DEP_3)
	v_add_f64_e32 v[165:166], v[165:166], v[77:78]
	v_fma_f64 v[77:78], v[139:140], s[2:3], v[141:142]
	v_mul_f64_e32 v[141:142], s[44:45], v[167:168]
	v_mul_f64_e32 v[167:168], s[40:41], v[187:188]
	v_add_f64_e32 v[71:72], v[77:78], v[71:72]
	v_fma_f64 v[77:78], v[143:144], s[2:3], -v[145:146]
	v_mul_f64_e32 v[145:146], s[44:45], v[169:170]
	v_mul_f64_e32 v[169:170], s[40:41], v[189:190]
	s_delay_alu instid0(VALU_DEP_3) | instskip(SKIP_2) | instid1(VALU_DEP_2)
	v_add_f64_e32 v[75:76], v[77:78], v[75:76]
	v_fma_f64 v[77:78], v[159:160], s[14:15], v[175:176]
	v_mul_f64_e32 v[175:176], s[20:21], v[199:200]
	v_add_f64_e32 v[71:72], v[77:78], v[71:72]
	v_fma_f64 v[77:78], v[161:162], s[14:15], -v[177:178]
	v_mul_f64_e32 v[177:178], s[20:21], v[201:202]
	s_delay_alu instid0(VALU_DEP_2) | instskip(SKIP_1) | instid1(VALU_DEP_1)
	v_add_f64_e32 v[75:76], v[77:78], v[75:76]
	v_fma_f64 v[77:78], v[171:172], s[16:17], v[195:196]
	v_add_f64_e32 v[71:72], v[77:78], v[71:72]
	v_fma_f64 v[77:78], v[173:174], s[16:17], -v[197:198]
	s_delay_alu instid0(VALU_DEP_1) | instskip(SKIP_1) | instid1(VALU_DEP_1)
	v_add_f64_e32 v[75:76], v[77:78], v[75:76]
	v_fma_f64 v[77:78], v[183:184], s[26:27], v[205:206]
	v_add_f64_e32 v[71:72], v[77:78], v[71:72]
	v_fma_f64 v[77:78], v[185:186], s[26:27], -v[207:208]
	s_delay_alu instid0(VALU_DEP_1) | instskip(SKIP_1) | instid1(VALU_DEP_1)
	v_add_f64_e32 v[75:76], v[77:78], v[75:76]
	v_fma_f64 v[77:78], v[191:192], s[12:13], v[215:216]
	v_add_f64_e32 v[71:72], v[77:78], v[71:72]
	v_fma_f64 v[77:78], v[193:194], s[12:13], -v[217:218]
	s_delay_alu instid0(VALU_DEP_1) | instskip(SKIP_1) | instid1(VALU_DEP_2)
	v_add_f64_e32 v[75:76], v[77:78], v[75:76]
	v_fma_f64 v[77:78], v[203:204], s[10:11], v[219:220]
	v_add_f64_e32 v[137:138], v[73:74], v[75:76]
	s_delay_alu instid0(VALU_DEP_2)
	v_add_f64_e32 v[135:136], v[77:78], v[71:72]
	v_mul_f64_e32 v[71:72], s[42:43], v[131:132]
	v_mul_f64_e32 v[75:76], s[42:43], v[133:134]
	;; [unrolled: 1-line block ×8, first 2 shown]
	v_fma_f64 v[73:74], v[123:124], s[16:17], -v[71:72]
	v_fma_f64 v[77:78], v[125:126], s[16:17], v[75:76]
	v_fma_f64 v[71:72], v[123:124], s[16:17], v[71:72]
	s_delay_alu instid0(VALU_DEP_3) | instskip(NEXT) | instid1(VALU_DEP_3)
	v_add_f64_e32 v[73:74], v[73:74], v[129:130]
	v_add_f64_e32 v[77:78], v[77:78], v[127:128]
	v_fma_f64 v[127:128], v[139:140], s[18:19], -v[131:132]
	s_delay_alu instid0(VALU_DEP_4) | instskip(NEXT) | instid1(VALU_DEP_2)
	v_add_f64_e32 v[71:72], v[71:72], v[119:120]
	v_add_f64_e32 v[73:74], v[127:128], v[73:74]
	v_fma_f64 v[127:128], v[143:144], s[18:19], v[133:134]
	s_delay_alu instid0(VALU_DEP_1) | instskip(SKIP_1) | instid1(VALU_DEP_1)
	v_add_f64_e32 v[77:78], v[127:128], v[77:78]
	v_fma_f64 v[127:128], v[159:160], s[12:13], -v[141:142]
	v_add_f64_e32 v[73:74], v[127:128], v[73:74]
	v_fma_f64 v[127:128], v[161:162], s[12:13], v[145:146]
	s_delay_alu instid0(VALU_DEP_1) | instskip(SKIP_1) | instid1(VALU_DEP_1)
	v_add_f64_e32 v[77:78], v[127:128], v[77:78]
	v_fma_f64 v[127:128], v[171:172], s[14:15], -v[155:156]
	;; [unrolled: 5-line block ×5, first 2 shown]
	v_add_f64_e32 v[127:128], v[127:128], v[73:74]
	v_fma_f64 v[73:74], v[209:210], s[2:3], v[181:182]
	s_delay_alu instid0(VALU_DEP_1) | instskip(SKIP_3) | instid1(VALU_DEP_3)
	v_add_f64_e32 v[129:130], v[73:74], v[77:78]
	v_fma_f64 v[73:74], v[125:126], s[16:17], -v[75:76]
	v_fma_f64 v[75:76], v[139:140], s[18:19], v[131:132]
	v_fma_f64 v[77:78], v[143:144], s[18:19], -v[133:134]
	v_add_f64_e32 v[73:74], v[73:74], v[121:122]
	s_delay_alu instid0(VALU_DEP_3) | instskip(SKIP_1) | instid1(VALU_DEP_3)
	v_add_f64_e32 v[71:72], v[75:76], v[71:72]
	v_fma_f64 v[75:76], v[159:160], s[12:13], v[141:142]
	v_add_f64_e32 v[73:74], v[77:78], v[73:74]
	v_fma_f64 v[77:78], v[161:162], s[12:13], -v[145:146]
	s_delay_alu instid0(VALU_DEP_3) | instskip(SKIP_1) | instid1(VALU_DEP_3)
	v_add_f64_e32 v[71:72], v[75:76], v[71:72]
	v_fma_f64 v[75:76], v[171:172], s[14:15], v[155:156]
	v_add_f64_e32 v[73:74], v[77:78], v[73:74]
	v_fma_f64 v[77:78], v[173:174], s[14:15], -v[157:158]
	;; [unrolled: 5-line block ×5, first 2 shown]
	s_delay_alu instid0(VALU_DEP_3) | instskip(NEXT) | instid1(VALU_DEP_2)
	v_add_f64_e32 v[119:120], v[75:76], v[71:72]
	v_add_f64_e32 v[121:122], v[77:78], v[73:74]
	ds_store_b128 v44, v[16:19] offset:1088
	ds_store_b128 v44, v[24:27] offset:1632
	;; [unrolled: 1-line block ×16, first 2 shown]
	ds_store_b128 v44, v[45:48]
	global_wb scope:SCOPE_SE
	s_wait_dscnt 0x0
	s_barrier_signal -1
	s_barrier_wait -1
	global_inv scope:SCOPE_SE
	ds_load_b128 v[8:11], v222
	ds_load_b128 v[12:15], v227 offset:1088
	ds_load_b128 v[40:43], v227 offset:9248
	;; [unrolled: 1-line block ×15, first 2 shown]
	s_and_saveexec_b32 s1, s0
	s_cbranch_execz .LBB0_24
; %bb.23:
	ds_load_b128 v[4:7], v227 offset:8704
	ds_load_b128 v[0:3], v227 offset:17952
	v_mov_b32_e32 v80, v224
.LBB0_24:
	s_wait_alu 0xfffe
	s_or_b32 exec_lo, exec_lo, s1
	s_clause 0x1
	scratch_load_b64 v[72:73], off, off offset:4 th:TH_LOAD_LU
	scratch_load_b64 v[74:75], off, off offset:20 th:TH_LOAD_LU
	s_wait_loadcnt 0x1
	v_add_co_u32 v72, s1, s4, v72
	s_wait_alu 0xf1ff
	v_add_co_ci_u32_e64 v73, s1, s5, v73, s1
	s_wait_loadcnt 0x0
	v_add_co_u32 v74, s1, s4, v74
	s_wait_alu 0xf1ff
	v_add_co_ci_u32_e64 v75, s1, s5, v75, s1
	s_clause 0x7
	global_load_b128 v[76:79], v[72:73], off offset:8976
	global_load_b128 v[81:84], v[74:75], off offset:10064
	;; [unrolled: 1-line block ×8, first 2 shown]
	s_wait_loadcnt_dscnt 0x70d
	v_mul_f64_e32 v[72:73], v[42:43], v[78:79]
	v_mul_f64_e32 v[74:75], v[40:41], v[78:79]
	s_wait_loadcnt_dscnt 0x60c
	v_mul_f64_e32 v[78:79], v[46:47], v[83:84]
	v_mul_f64_e32 v[83:84], v[44:45], v[83:84]
	;; [unrolled: 3-line block ×8, first 2 shown]
	v_fma_f64 v[40:41], v[40:41], v[76:77], -v[72:73]
	scratch_load_b32 v72, off, off th:TH_LOAD_LU ; 4-byte Folded Reload
	v_fma_f64 v[42:43], v[42:43], v[76:77], v[74:75]
	v_fma_f64 v[44:45], v[44:45], v[81:82], -v[78:79]
	v_fma_f64 v[46:47], v[46:47], v[81:82], v[83:84]
	v_fma_f64 v[48:49], v[48:49], v[85:86], -v[109:110]
	;; [unrolled: 2-line block ×7, first 2 shown]
	v_fma_f64 v[70:71], v[70:71], v[105:106], v[107:108]
	v_lshl_add_u32 v73, v226, 4, 0
	global_wb scope:SCOPE_SE
	s_wait_loadcnt 0x0
	s_barrier_signal -1
	s_barrier_wait -1
	global_inv scope:SCOPE_SE
	v_add_f64_e64 v[40:41], v[8:9], -v[40:41]
	v_add_f64_e64 v[42:43], v[10:11], -v[42:43]
	;; [unrolled: 1-line block ×16, first 2 shown]
	v_fma_f64 v[8:9], v[8:9], 2.0, -v[40:41]
	v_fma_f64 v[10:11], v[10:11], 2.0, -v[42:43]
	;; [unrolled: 1-line block ×16, first 2 shown]
	v_lshl_add_u32 v72, v72, 4, v73
	ds_store_b128 v227, v[40:43] offset:9248
	ds_store_b128 v72, v[44:47] offset:10336
	;; [unrolled: 1-line block ×6, first 2 shown]
	ds_store_b128 v227, v[8:11]
	ds_store_b128 v227, v[12:15] offset:1088
	ds_store_b128 v227, v[16:19] offset:2176
	;; [unrolled: 1-line block ×9, first 2 shown]
	s_and_saveexec_b32 s1, s0
	s_cbranch_execz .LBB0_26
; %bb.25:
	v_mov_b32_e32 v81, 0
	s_delay_alu instid0(VALU_DEP_1) | instskip(NEXT) | instid1(VALU_DEP_1)
	v_lshlrev_b64_e32 v[8:9], 4, v[80:81]
	v_add_co_u32 v8, s0, s4, v8
	s_wait_alu 0xf1ff
	s_delay_alu instid0(VALU_DEP_2) | instskip(SKIP_4) | instid1(VALU_DEP_2)
	v_add_co_ci_u32_e64 v9, s0, s5, v9, s0
	global_load_b128 v[8:11], v[8:9], off offset:8976
	s_wait_loadcnt 0x0
	v_mul_f64_e32 v[12:13], v[0:1], v[10:11]
	v_mul_f64_e32 v[10:11], v[2:3], v[10:11]
	v_fma_f64 v[2:3], v[2:3], v[8:9], v[12:13]
	s_delay_alu instid0(VALU_DEP_2) | instskip(NEXT) | instid1(VALU_DEP_2)
	v_fma_f64 v[0:1], v[0:1], v[8:9], -v[10:11]
	v_add_f64_e64 v[2:3], v[6:7], -v[2:3]
	s_delay_alu instid0(VALU_DEP_2) | instskip(NEXT) | instid1(VALU_DEP_2)
	v_add_f64_e64 v[0:1], v[4:5], -v[0:1]
	v_fma_f64 v[6:7], v[6:7], 2.0, -v[2:3]
	s_delay_alu instid0(VALU_DEP_2)
	v_fma_f64 v[4:5], v[4:5], 2.0, -v[0:1]
	ds_store_b128 v227, v[4:7] offset:8704
	ds_store_b128 v227, v[0:3] offset:17952
.LBB0_26:
	s_wait_alu 0xfffe
	s_or_b32 exec_lo, exec_lo, s1
	global_wb scope:SCOPE_SE
	s_wait_dscnt 0x0
	s_barrier_signal -1
	s_barrier_wait -1
	global_inv scope:SCOPE_SE
	s_and_saveexec_b32 s0, vcc_lo
	s_cbranch_execz .LBB0_28
; %bb.27:
	scratch_load_b32 v0, off, off offset:84 th:TH_LOAD_LU ; 4-byte Folded Reload
	v_dual_mov_b32 v227, 0 :: v_dual_add_nc_u32 v8, 0x44, v226
	v_add_nc_u32_e32 v10, 0x88, v226
	v_add_nc_u32_e32 v22, 0xcc, v226
	s_delay_alu instid0(VALU_DEP_3) | instskip(SKIP_3) | instid1(VALU_DEP_4)
	v_dual_mov_b32 v9, v227 :: v_dual_add_nc_u32 v24, 0x110, v226
	v_mov_b32_e32 v11, v227
	v_mov_b32_e32 v23, v227
	;; [unrolled: 1-line block ×3, first 2 shown]
	v_lshlrev_b64_e32 v[18:19], 4, v[8:9]
	s_delay_alu instid0(VALU_DEP_4) | instskip(NEXT) | instid1(VALU_DEP_4)
	v_lshlrev_b64_e32 v[20:21], 4, v[10:11]
	v_lshlrev_b64_e32 v[22:23], 4, v[22:23]
	s_wait_loadcnt 0x0
	v_lshl_add_u32 v28, v226, 4, v0
	scratch_load_b64 v[0:1], off, off offset:12 th:TH_LOAD_LU ; 8-byte Folded Reload
	s_wait_loadcnt 0x0
	v_add_co_u32 v30, vcc_lo, s8, v0
	s_wait_alu 0xfffd
	v_add_co_ci_u32_e32 v31, vcc_lo, s9, v1, vcc_lo
	v_lshlrev_b64_e32 v[0:1], 4, v[226:227]
	s_delay_alu instid0(VALU_DEP_1) | instskip(SKIP_1) | instid1(VALU_DEP_2)
	v_add_co_u32 v16, vcc_lo, v30, v0
	s_wait_alu 0xfffd
	v_add_co_ci_u32_e32 v17, vcc_lo, v31, v1, vcc_lo
	ds_load_b128 v[0:3], v28
	ds_load_b128 v[4:7], v28 offset:1088
	ds_load_b128 v[8:11], v28 offset:2176
	ds_load_b128 v[12:15], v28 offset:3264
	v_add_co_u32 v18, vcc_lo, v30, v18
	s_wait_alu 0xfffd
	v_add_co_ci_u32_e32 v19, vcc_lo, v31, v19, vcc_lo
	v_add_co_u32 v20, vcc_lo, v30, v20
	s_wait_alu 0xfffd
	v_add_co_ci_u32_e32 v21, vcc_lo, v31, v21, vcc_lo
	;; [unrolled: 3-line block ×3, first 2 shown]
	s_wait_dscnt 0x3
	global_store_b128 v[16:17], v[0:3], off
	s_wait_dscnt 0x2
	global_store_b128 v[18:19], v[4:7], off
	;; [unrolled: 2-line block ×4, first 2 shown]
	v_add_nc_u32_e32 v8, 0x154, v226
	v_lshlrev_b64_e32 v[0:1], 4, v[24:25]
	v_dual_mov_b32 v9, v227 :: v_dual_add_nc_u32 v10, 0x198, v226
	v_dual_mov_b32 v11, v227 :: v_dual_add_nc_u32 v22, 0x1dc, v226
	;; [unrolled: 1-line block ×3, first 2 shown]
	s_delay_alu instid0(VALU_DEP_4)
	v_add_co_u32 v16, vcc_lo, v30, v0
	s_wait_alu 0xfffd
	v_add_co_ci_u32_e32 v17, vcc_lo, v31, v1, vcc_lo
	ds_load_b128 v[0:3], v28 offset:4352
	ds_load_b128 v[4:7], v28 offset:5440
	v_lshlrev_b64_e32 v[18:19], 4, v[8:9]
	v_lshlrev_b64_e32 v[20:21], 4, v[10:11]
	ds_load_b128 v[8:11], v28 offset:6528
	ds_load_b128 v[12:15], v28 offset:7616
	v_lshlrev_b64_e32 v[22:23], 4, v[22:23]
	v_add_co_u32 v18, vcc_lo, v30, v18
	s_wait_alu 0xfffd
	v_add_co_ci_u32_e32 v19, vcc_lo, v31, v19, vcc_lo
	v_add_co_u32 v20, vcc_lo, v30, v20
	s_wait_alu 0xfffd
	v_add_co_ci_u32_e32 v21, vcc_lo, v31, v21, vcc_lo
	;; [unrolled: 3-line block ×3, first 2 shown]
	s_wait_dscnt 0x3
	global_store_b128 v[16:17], v[0:3], off
	s_wait_dscnt 0x2
	global_store_b128 v[18:19], v[4:7], off
	s_wait_dscnt 0x1
	global_store_b128 v[20:21], v[8:11], off
	s_wait_dscnt 0x0
	global_store_b128 v[22:23], v[12:15], off
	v_lshlrev_b64_e32 v[0:1], 4, v[24:25]
	v_dual_mov_b32 v9, v227 :: v_dual_add_nc_u32 v8, 0x264, v226
	v_dual_mov_b32 v11, v227 :: v_dual_add_nc_u32 v10, 0x2a8, v226
	;; [unrolled: 1-line block ×3, first 2 shown]
	s_delay_alu instid0(VALU_DEP_4)
	v_add_co_u32 v16, vcc_lo, v30, v0
	s_wait_alu 0xfffd
	v_add_co_ci_u32_e32 v17, vcc_lo, v31, v1, vcc_lo
	ds_load_b128 v[0:3], v28 offset:8704
	ds_load_b128 v[4:7], v28 offset:9792
	v_lshlrev_b64_e32 v[18:19], 4, v[8:9]
	v_lshlrev_b64_e32 v[20:21], 4, v[10:11]
	ds_load_b128 v[8:11], v28 offset:10880
	ds_load_b128 v[12:15], v28 offset:11968
	v_lshlrev_b64_e32 v[22:23], 4, v[22:23]
	v_add_nc_u32_e32 v24, 0x330, v226
	v_add_co_u32 v18, vcc_lo, v30, v18
	s_wait_alu 0xfffd
	v_add_co_ci_u32_e32 v19, vcc_lo, v31, v19, vcc_lo
	v_add_co_u32 v20, vcc_lo, v30, v20
	s_wait_alu 0xfffd
	v_add_co_ci_u32_e32 v21, vcc_lo, v31, v21, vcc_lo
	v_add_co_u32 v22, vcc_lo, v30, v22
	s_wait_dscnt 0x3
	global_store_b128 v[16:17], v[0:3], off
	s_wait_dscnt 0x2
	global_store_b128 v[18:19], v[4:7], off
	v_dual_mov_b32 v3, v227 :: v_dual_add_nc_u32 v2, 0x374, v226
	s_wait_alu 0xfffd
	v_add_co_ci_u32_e32 v23, vcc_lo, v31, v23, vcc_lo
	v_lshlrev_b64_e32 v[0:1], 4, v[24:25]
	s_wait_dscnt 0x1
	global_store_b128 v[20:21], v[8:11], off
	s_wait_dscnt 0x0
	global_store_b128 v[22:23], v[12:15], off
	v_mov_b32_e32 v11, v227
	v_lshlrev_b64_e32 v[8:9], 4, v[2:3]
	v_add_nc_u32_e32 v10, 0x3b8, v226
	v_add_co_u32 v20, vcc_lo, v30, v0
	s_wait_alu 0xfffd
	v_add_co_ci_u32_e32 v21, vcc_lo, v31, v1, vcc_lo
	s_delay_alu instid0(VALU_DEP_4)
	v_add_co_u32 v22, vcc_lo, v30, v8
	ds_load_b128 v[0:3], v28 offset:13056
	ds_load_b128 v[4:7], v28 offset:14144
	s_wait_alu 0xfffd
	v_add_co_ci_u32_e32 v23, vcc_lo, v31, v9, vcc_lo
	v_lshlrev_b64_e32 v[26:27], 4, v[10:11]
	ds_load_b128 v[8:11], v28 offset:15232
	ds_load_b128 v[12:15], v28 offset:16320
	;; [unrolled: 1-line block ×3, first 2 shown]
	v_add_nc_u32_e32 v24, 0x3fc, v226
	v_add_nc_u32_e32 v226, 0x440, v226
	v_add_co_u32 v26, vcc_lo, v30, v26
	s_delay_alu instid0(VALU_DEP_3) | instskip(NEXT) | instid1(VALU_DEP_3)
	v_lshlrev_b64_e32 v[24:25], 4, v[24:25]
	v_lshlrev_b64_e32 v[28:29], 4, v[226:227]
	s_wait_alu 0xfffd
	v_add_co_ci_u32_e32 v27, vcc_lo, v31, v27, vcc_lo
	s_delay_alu instid0(VALU_DEP_3)
	v_add_co_u32 v24, vcc_lo, v30, v24
	s_wait_alu 0xfffd
	v_add_co_ci_u32_e32 v25, vcc_lo, v31, v25, vcc_lo
	v_add_co_u32 v28, vcc_lo, v30, v28
	s_wait_alu 0xfffd
	v_add_co_ci_u32_e32 v29, vcc_lo, v31, v29, vcc_lo
	s_wait_dscnt 0x4
	global_store_b128 v[20:21], v[0:3], off
	s_wait_dscnt 0x3
	global_store_b128 v[22:23], v[4:7], off
	;; [unrolled: 2-line block ×5, first 2 shown]
.LBB0_28:
	s_nop 0
	s_sendmsg sendmsg(MSG_DEALLOC_VGPRS)
	s_endpgm
	.section	.rodata,"a",@progbits
	.p2align	6, 0x0
	.amdhsa_kernel fft_rtc_fwd_len1156_factors_17_2_17_2_wgs_204_tpt_68_halfLds_dp_ip_CI_unitstride_sbrr_C2R_dirReg
		.amdhsa_group_segment_fixed_size 0
		.amdhsa_private_segment_fixed_size 92
		.amdhsa_kernarg_size 88
		.amdhsa_user_sgpr_count 2
		.amdhsa_user_sgpr_dispatch_ptr 0
		.amdhsa_user_sgpr_queue_ptr 0
		.amdhsa_user_sgpr_kernarg_segment_ptr 1
		.amdhsa_user_sgpr_dispatch_id 0
		.amdhsa_user_sgpr_private_segment_size 0
		.amdhsa_wavefront_size32 1
		.amdhsa_uses_dynamic_stack 0
		.amdhsa_enable_private_segment 1
		.amdhsa_system_sgpr_workgroup_id_x 1
		.amdhsa_system_sgpr_workgroup_id_y 0
		.amdhsa_system_sgpr_workgroup_id_z 0
		.amdhsa_system_sgpr_workgroup_info 0
		.amdhsa_system_vgpr_workitem_id 0
		.amdhsa_next_free_vgpr 256
		.amdhsa_next_free_sgpr 52
		.amdhsa_reserve_vcc 1
		.amdhsa_float_round_mode_32 0
		.amdhsa_float_round_mode_16_64 0
		.amdhsa_float_denorm_mode_32 3
		.amdhsa_float_denorm_mode_16_64 3
		.amdhsa_fp16_overflow 0
		.amdhsa_workgroup_processor_mode 1
		.amdhsa_memory_ordered 1
		.amdhsa_forward_progress 0
		.amdhsa_round_robin_scheduling 0
		.amdhsa_exception_fp_ieee_invalid_op 0
		.amdhsa_exception_fp_denorm_src 0
		.amdhsa_exception_fp_ieee_div_zero 0
		.amdhsa_exception_fp_ieee_overflow 0
		.amdhsa_exception_fp_ieee_underflow 0
		.amdhsa_exception_fp_ieee_inexact 0
		.amdhsa_exception_int_div_zero 0
	.end_amdhsa_kernel
	.text
.Lfunc_end0:
	.size	fft_rtc_fwd_len1156_factors_17_2_17_2_wgs_204_tpt_68_halfLds_dp_ip_CI_unitstride_sbrr_C2R_dirReg, .Lfunc_end0-fft_rtc_fwd_len1156_factors_17_2_17_2_wgs_204_tpt_68_halfLds_dp_ip_CI_unitstride_sbrr_C2R_dirReg
                                        ; -- End function
	.section	.AMDGPU.csdata,"",@progbits
; Kernel info:
; codeLenInByte = 19036
; NumSgprs: 54
; NumVgprs: 256
; ScratchSize: 92
; MemoryBound: 0
; FloatMode: 240
; IeeeMode: 1
; LDSByteSize: 0 bytes/workgroup (compile time only)
; SGPRBlocks: 6
; VGPRBlocks: 31
; NumSGPRsForWavesPerEU: 54
; NumVGPRsForWavesPerEU: 256
; Occupancy: 5
; WaveLimiterHint : 1
; COMPUTE_PGM_RSRC2:SCRATCH_EN: 1
; COMPUTE_PGM_RSRC2:USER_SGPR: 2
; COMPUTE_PGM_RSRC2:TRAP_HANDLER: 0
; COMPUTE_PGM_RSRC2:TGID_X_EN: 1
; COMPUTE_PGM_RSRC2:TGID_Y_EN: 0
; COMPUTE_PGM_RSRC2:TGID_Z_EN: 0
; COMPUTE_PGM_RSRC2:TIDIG_COMP_CNT: 0
	.text
	.p2alignl 7, 3214868480
	.fill 96, 4, 3214868480
	.type	__hip_cuid_2a8fb7fe9eec7a91,@object ; @__hip_cuid_2a8fb7fe9eec7a91
	.section	.bss,"aw",@nobits
	.globl	__hip_cuid_2a8fb7fe9eec7a91
__hip_cuid_2a8fb7fe9eec7a91:
	.byte	0                               ; 0x0
	.size	__hip_cuid_2a8fb7fe9eec7a91, 1

	.ident	"AMD clang version 19.0.0git (https://github.com/RadeonOpenCompute/llvm-project roc-6.4.0 25133 c7fe45cf4b819c5991fe208aaa96edf142730f1d)"
	.section	".note.GNU-stack","",@progbits
	.addrsig
	.addrsig_sym __hip_cuid_2a8fb7fe9eec7a91
	.amdgpu_metadata
---
amdhsa.kernels:
  - .args:
      - .actual_access:  read_only
        .address_space:  global
        .offset:         0
        .size:           8
        .value_kind:     global_buffer
      - .offset:         8
        .size:           8
        .value_kind:     by_value
      - .actual_access:  read_only
        .address_space:  global
        .offset:         16
        .size:           8
        .value_kind:     global_buffer
      - .actual_access:  read_only
        .address_space:  global
        .offset:         24
        .size:           8
        .value_kind:     global_buffer
      - .offset:         32
        .size:           8
        .value_kind:     by_value
      - .actual_access:  read_only
        .address_space:  global
        .offset:         40
        .size:           8
        .value_kind:     global_buffer
      - .actual_access:  read_only
        .address_space:  global
        .offset:         48
        .size:           8
        .value_kind:     global_buffer
      - .offset:         56
        .size:           4
        .value_kind:     by_value
      - .actual_access:  read_only
        .address_space:  global
        .offset:         64
        .size:           8
        .value_kind:     global_buffer
      - .actual_access:  read_only
        .address_space:  global
        .offset:         72
        .size:           8
        .value_kind:     global_buffer
      - .address_space:  global
        .offset:         80
        .size:           8
        .value_kind:     global_buffer
    .group_segment_fixed_size: 0
    .kernarg_segment_align: 8
    .kernarg_segment_size: 88
    .language:       OpenCL C
    .language_version:
      - 2
      - 0
    .max_flat_workgroup_size: 204
    .name:           fft_rtc_fwd_len1156_factors_17_2_17_2_wgs_204_tpt_68_halfLds_dp_ip_CI_unitstride_sbrr_C2R_dirReg
    .private_segment_fixed_size: 92
    .sgpr_count:     54
    .sgpr_spill_count: 0
    .symbol:         fft_rtc_fwd_len1156_factors_17_2_17_2_wgs_204_tpt_68_halfLds_dp_ip_CI_unitstride_sbrr_C2R_dirReg.kd
    .uniform_work_group_size: 1
    .uses_dynamic_stack: false
    .vgpr_count:     256
    .vgpr_spill_count: 22
    .wavefront_size: 32
    .workgroup_processor_mode: 1
amdhsa.target:   amdgcn-amd-amdhsa--gfx1201
amdhsa.version:
  - 1
  - 2
...

	.end_amdgpu_metadata
